;; amdgpu-corpus repo=ROCm/rocFFT kind=compiled arch=gfx906 opt=O3
	.text
	.amdgcn_target "amdgcn-amd-amdhsa--gfx906"
	.amdhsa_code_object_version 6
	.protected	bluestein_single_back_len693_dim1_dp_op_CI_CI ; -- Begin function bluestein_single_back_len693_dim1_dp_op_CI_CI
	.globl	bluestein_single_back_len693_dim1_dp_op_CI_CI
	.p2align	8
	.type	bluestein_single_back_len693_dim1_dp_op_CI_CI,@function
bluestein_single_back_len693_dim1_dp_op_CI_CI: ; @bluestein_single_back_len693_dim1_dp_op_CI_CI
; %bb.0:
	s_mov_b64 s[46:47], s[2:3]
	s_mov_b64 s[44:45], s[0:1]
	s_load_dwordx4 s[0:3], s[4:5], 0x28
	v_mul_u32_u24_e32 v1, 0x296, v0
	v_add_u32_sdwa v217, s6, v1 dst_sel:DWORD dst_unused:UNUSED_PAD src0_sel:DWORD src1_sel:WORD_1
	v_mov_b32_e32 v218, 0
	s_add_u32 s44, s44, s7
	s_waitcnt lgkmcnt(0)
	v_cmp_gt_u64_e32 vcc, s[0:1], v[217:218]
	s_addc_u32 s45, s45, 0
	s_and_saveexec_b64 s[0:1], vcc
	s_cbranch_execz .LBB0_23
; %bb.1:
	s_load_dwordx2 s[14:15], s[4:5], 0x0
	s_load_dwordx2 s[12:13], s[4:5], 0x38
	s_movk_i32 s0, 0x63
	v_mul_lo_u16_sdwa v1, v1, s0 dst_sel:DWORD dst_unused:UNUSED_PAD src0_sel:WORD_1 src1_sel:DWORD
	v_sub_u16_e32 v108, v0, v1
	v_cmp_gt_u16_e64 s[0:1], 63, v108
	v_lshlrev_b32_e32 v189, 4, v108
	s_and_saveexec_b64 s[6:7], s[0:1]
	s_cbranch_execz .LBB0_3
; %bb.2:
	s_load_dwordx2 s[8:9], s[4:5], 0x18
	s_waitcnt lgkmcnt(0)
	v_mov_b32_e32 v28, s15
	s_load_dwordx4 s[8:11], s[8:9], 0x0
	s_waitcnt lgkmcnt(0)
	v_mad_u64_u32 v[0:1], s[16:17], s10, v217, 0
	v_mad_u64_u32 v[2:3], s[16:17], s8, v108, 0
	;; [unrolled: 1-line block ×4, first 2 shown]
	v_mov_b32_e32 v1, v4
	v_lshlrev_b64 v[0:1], 4, v[0:1]
	v_mov_b32_e32 v3, v5
	v_mov_b32_e32 v6, s3
	v_lshlrev_b64 v[2:3], 4, v[2:3]
	v_add_co_u32_e32 v0, vcc, s2, v0
	v_addc_co_u32_e32 v1, vcc, v6, v1, vcc
	v_add_co_u32_e32 v16, vcc, v0, v2
	s_mul_i32 s2, s9, 0x3f0
	s_mul_hi_u32 s3, s8, 0x3f0
	v_addc_co_u32_e32 v17, vcc, v1, v3, vcc
	s_add_i32 s2, s3, s2
	s_mul_i32 s3, s8, 0x3f0
	v_mov_b32_e32 v0, s2
	v_add_co_u32_e32 v18, vcc, s3, v16
	v_addc_co_u32_e32 v19, vcc, v17, v0, vcc
	global_load_dwordx4 v[0:3], v[16:17], off
	global_load_dwordx4 v[4:7], v[18:19], off
	global_load_dwordx4 v[8:11], v189, s[14:15]
	global_load_dwordx4 v[12:15], v189, s[14:15] offset:1008
	v_mov_b32_e32 v16, s2
	v_add_co_u32_e32 v52, vcc, s3, v18
	v_addc_co_u32_e32 v53, vcc, v19, v16, vcc
	v_add_co_u32_e32 v78, vcc, s14, v189
	s_movk_i32 s8, 0x1000
	v_addc_co_u32_e32 v79, vcc, 0, v28, vcc
	v_add_co_u32_e32 v44, vcc, s8, v78
	v_addc_co_u32_e32 v45, vcc, 0, v79, vcc
	global_load_dwordx4 v[16:19], v189, s[14:15] offset:2016
	global_load_dwordx4 v[20:23], v189, s[14:15] offset:3024
	;; [unrolled: 1-line block ×3, first 2 shown]
	global_load_dwordx4 v[28:31], v[44:45], off offset:944
	global_load_dwordx4 v[32:35], v[44:45], off offset:1952
	;; [unrolled: 1-line block ×4, first 2 shown]
	v_mov_b32_e32 v44, s2
	v_add_co_u32_e32 v54, vcc, s3, v52
	v_addc_co_u32_e32 v55, vcc, v53, v44, vcc
	global_load_dwordx4 v[44:47], v[52:53], off
	global_load_dwordx4 v[48:51], v[54:55], off
	v_mov_b32_e32 v57, s2
	v_add_co_u32_e32 v56, vcc, s3, v54
	v_addc_co_u32_e32 v57, vcc, v55, v57, vcc
	v_mov_b32_e32 v58, s2
	v_add_co_u32_e32 v60, vcc, s3, v56
	v_addc_co_u32_e32 v61, vcc, v57, v58, vcc
	;; [unrolled: 3-line block ×3, first 2 shown]
	global_load_dwordx4 v[52:55], v[56:57], off
	v_mov_b32_e32 v66, s2
	global_load_dwordx4 v[56:59], v[60:61], off
	v_add_co_u32_e32 v68, vcc, s3, v64
	global_load_dwordx4 v[60:63], v[64:65], off
	v_addc_co_u32_e32 v69, vcc, v65, v66, vcc
	v_mov_b32_e32 v70, s2
	v_add_co_u32_e32 v72, vcc, s3, v68
	v_addc_co_u32_e32 v73, vcc, v69, v70, vcc
	v_mov_b32_e32 v74, s2
	v_add_co_u32_e32 v76, vcc, s3, v72
	v_addc_co_u32_e32 v77, vcc, v73, v74, vcc
	s_movk_i32 s8, 0x2000
	global_load_dwordx4 v[64:67], v[68:69], off
	v_add_co_u32_e32 v88, vcc, s8, v78
	global_load_dwordx4 v[68:71], v[72:73], off
	v_addc_co_u32_e32 v89, vcc, 0, v79, vcc
	global_load_dwordx4 v[72:75], v[76:77], off
	v_mov_b32_e32 v78, s2
	v_add_co_u32_e32 v90, vcc, s3, v76
	v_addc_co_u32_e32 v91, vcc, v77, v78, vcc
	global_load_dwordx4 v[76:79], v[88:89], off offset:880
	global_load_dwordx4 v[80:83], v[90:91], off
	global_load_dwordx4 v[84:87], v[88:89], off offset:1888
	s_waitcnt vmcnt(19)
	v_mul_f64 v[88:89], v[2:3], v[10:11]
	v_mul_f64 v[10:11], v[0:1], v[10:11]
	s_waitcnt vmcnt(18)
	v_mul_f64 v[90:91], v[6:7], v[14:15]
	v_mul_f64 v[14:15], v[4:5], v[14:15]
	v_fma_f64 v[0:1], v[0:1], v[8:9], v[88:89]
	v_fma_f64 v[2:3], v[2:3], v[8:9], -v[10:11]
	v_fma_f64 v[4:5], v[4:5], v[12:13], v[90:91]
	v_fma_f64 v[6:7], v[6:7], v[12:13], -v[14:15]
	ds_write_b128 v189, v[0:3]
	ds_write_b128 v189, v[4:7] offset:1008
	s_waitcnt vmcnt(10)
	v_mul_f64 v[88:89], v[46:47], v[18:19]
	v_mul_f64 v[18:19], v[44:45], v[18:19]
	s_waitcnt vmcnt(9)
	v_mul_f64 v[12:13], v[50:51], v[22:23]
	v_mul_f64 v[2:3], v[48:49], v[22:23]
	v_fma_f64 v[8:9], v[44:45], v[16:17], v[88:89]
	v_fma_f64 v[10:11], v[46:47], v[16:17], -v[18:19]
	v_fma_f64 v[0:1], v[48:49], v[20:21], v[12:13]
	v_fma_f64 v[2:3], v[50:51], v[20:21], -v[2:3]
	s_waitcnt vmcnt(8)
	v_mul_f64 v[4:5], v[54:55], v[26:27]
	v_mul_f64 v[6:7], v[52:53], v[26:27]
	s_waitcnt vmcnt(7)
	v_mul_f64 v[12:13], v[58:59], v[30:31]
	v_mul_f64 v[14:15], v[56:57], v[30:31]
	ds_write_b128 v189, v[8:11] offset:2016
	s_waitcnt vmcnt(6)
	v_mul_f64 v[16:17], v[62:63], v[34:35]
	v_mul_f64 v[18:19], v[60:61], v[34:35]
	v_fma_f64 v[4:5], v[52:53], v[24:25], v[4:5]
	v_fma_f64 v[6:7], v[54:55], v[24:25], -v[6:7]
	v_fma_f64 v[8:9], v[56:57], v[28:29], v[12:13]
	v_fma_f64 v[10:11], v[58:59], v[28:29], -v[14:15]
	;; [unrolled: 2-line block ×3, first 2 shown]
	s_waitcnt vmcnt(5)
	v_mul_f64 v[16:17], v[66:67], v[38:39]
	v_mul_f64 v[18:19], v[64:65], v[38:39]
	s_waitcnt vmcnt(4)
	v_mul_f64 v[20:21], v[70:71], v[42:43]
	v_mul_f64 v[22:23], v[68:69], v[42:43]
	v_fma_f64 v[16:17], v[64:65], v[36:37], v[16:17]
	v_fma_f64 v[18:19], v[66:67], v[36:37], -v[18:19]
	s_waitcnt vmcnt(2)
	v_mul_f64 v[24:25], v[74:75], v[78:79]
	v_mul_f64 v[26:27], v[72:73], v[78:79]
	s_waitcnt vmcnt(0)
	v_mul_f64 v[28:29], v[82:83], v[86:87]
	v_mul_f64 v[30:31], v[80:81], v[86:87]
	v_fma_f64 v[20:21], v[68:69], v[40:41], v[20:21]
	v_fma_f64 v[22:23], v[70:71], v[40:41], -v[22:23]
	v_fma_f64 v[24:25], v[72:73], v[76:77], v[24:25]
	v_fma_f64 v[26:27], v[74:75], v[76:77], -v[26:27]
	;; [unrolled: 2-line block ×3, first 2 shown]
	ds_write_b128 v189, v[0:3] offset:3024
	ds_write_b128 v189, v[4:7] offset:4032
	ds_write_b128 v189, v[8:11] offset:5040
	ds_write_b128 v189, v[12:15] offset:6048
	ds_write_b128 v189, v[16:19] offset:7056
	ds_write_b128 v189, v[20:23] offset:8064
	ds_write_b128 v189, v[24:27] offset:9072
	ds_write_b128 v189, v[28:31] offset:10080
.LBB0_3:
	s_or_b64 exec, exec, s[6:7]
	s_load_dwordx2 s[2:3], s[4:5], 0x20
	s_load_dwordx2 s[8:9], s[4:5], 0x8
	s_waitcnt lgkmcnt(0)
	s_barrier
	s_waitcnt lgkmcnt(0)
                                        ; implicit-def: $vgpr8_vgpr9
                                        ; implicit-def: $vgpr12_vgpr13
                                        ; implicit-def: $vgpr16_vgpr17
                                        ; implicit-def: $vgpr20_vgpr21
                                        ; implicit-def: $vgpr24_vgpr25
                                        ; implicit-def: $vgpr28_vgpr29
                                        ; implicit-def: $vgpr32_vgpr33
                                        ; implicit-def: $vgpr36_vgpr37
                                        ; implicit-def: $vgpr40_vgpr41
                                        ; implicit-def: $vgpr44_vgpr45
                                        ; implicit-def: $vgpr48_vgpr49
	s_and_saveexec_b64 s[4:5], s[0:1]
	s_cbranch_execz .LBB0_5
; %bb.4:
	ds_read_b128 v[8:11], v189
	ds_read_b128 v[12:15], v189 offset:1008
	ds_read_b128 v[16:19], v189 offset:2016
	;; [unrolled: 1-line block ×10, first 2 shown]
.LBB0_5:
	s_or_b64 exec, exec, s[4:5]
	s_waitcnt lgkmcnt(0)
	v_add_f64 v[84:85], v[14:15], -v[50:51]
	s_mov_b32 s6, 0xf8bb580b
	s_mov_b32 s7, 0xbfe14ced
	v_add_f64 v[76:77], v[12:13], v[48:49]
	v_add_f64 v[111:112], v[18:19], -v[46:47]
	s_mov_b32 s10, 0x8764f0ba
	s_mov_b32 s18, 0x8eee2c13
	;; [unrolled: 1-line block ×3, first 2 shown]
	v_mul_f64 v[52:53], v[84:85], s[6:7]
	s_mov_b32 s19, 0xbfed1bb4
	v_add_f64 v[78:79], v[12:13], -v[48:49]
	v_add_f64 v[92:93], v[16:17], v[44:45]
	v_mul_f64 v[54:55], v[111:112], s[18:19]
	v_add_f64 v[131:132], v[22:23], -v[42:43]
	s_mov_b32 s4, 0xd9c712b6
	s_mov_b32 s16, 0x43842ef
	v_fma_f64 v[0:1], v[76:77], s[10:11], v[52:53]
	s_mov_b32 s5, 0x3fda9628
	s_mov_b32 s17, 0xbfefac9e
	v_add_f64 v[96:97], v[14:15], v[50:51]
	v_add_f64 v[98:99], v[16:17], -v[44:45]
	v_fma_f64 v[4:5], v[92:93], s[4:5], v[54:55]
	v_add_f64 v[100:101], v[20:21], v[40:41]
	v_mul_f64 v[60:61], v[131:132], s[16:17]
	v_add_f64 v[0:1], v[8:9], v[0:1]
	v_add_f64 v[125:126], v[26:27], -v[38:39]
	v_mul_f64 v[82:83], v[84:85], s[18:19]
	v_mul_f64 v[123:124], v[78:79], s[18:19]
	s_mov_b32 s20, 0x640f44db
	s_mov_b32 s26, 0xbb3a28a1
	;; [unrolled: 1-line block ×4, first 2 shown]
	v_add_f64 v[127:128], v[18:19], v[46:47]
	v_add_f64 v[0:1], v[4:5], v[0:1]
	v_fma_f64 v[4:5], v[100:101], s[20:21], v[60:61]
	v_add_f64 v[113:114], v[24:25], v[36:37]
	v_mul_f64 v[72:73], v[125:126], s[26:27]
	v_fma_f64 v[64:65], v[76:77], s[4:5], v[82:83]
	v_mul_f64 v[88:89], v[111:112], s[26:27]
	v_fma_f64 v[66:67], v[96:97], s[4:5], -v[123:124]
	v_mul_f64 v[102:103], v[98:99], s[26:27]
	s_mov_b32 s24, 0x7f775887
	s_mov_b32 s38, 0xfd768dbf
	s_mov_b32 s25, 0xbfe4f49e
	s_mov_b32 s39, 0x3fd207e7
	v_add_f64 v[0:1], v[4:5], v[0:1]
	v_fma_f64 v[4:5], v[113:114], s[24:25], v[72:73]
	v_add_f64 v[64:65], v[8:9], v[64:65]
	v_fma_f64 v[68:69], v[92:93], s[24:25], v[88:89]
	v_add_f64 v[66:67], v[10:11], v[66:67]
	v_fma_f64 v[70:71], v[127:128], s[24:25], -v[102:103]
	v_mul_f64 v[90:91], v[131:132], s[38:39]
	s_mov_b32 s28, 0x9bcd5057
	s_mov_b32 s29, 0xbfeeb42a
	;; [unrolled: 1-line block ×4, first 2 shown]
	v_add_f64 v[0:1], v[4:5], v[0:1]
	v_add_f64 v[4:5], v[68:69], v[64:65]
	;; [unrolled: 1-line block ×3, first 2 shown]
	v_fma_f64 v[66:67], v[100:101], s[28:29], v[90:91]
	v_mul_f64 v[94:95], v[125:126], s[30:31]
	v_mul_f64 v[119:120], v[84:85], s[16:17]
	;; [unrolled: 1-line block ×4, first 2 shown]
	v_add_f64 v[121:122], v[20:21], -v[40:41]
	v_mul_f64 v[129:130], v[111:112], s[38:39]
	v_mul_f64 v[159:160], v[98:99], s[38:39]
	v_add_f64 v[4:5], v[66:67], v[4:5]
	v_fma_f64 v[66:67], v[113:114], s[20:21], v[94:95]
	v_fma_f64 v[133:134], v[76:77], s[20:21], v[119:120]
	v_mul_f64 v[161:162], v[84:85], s[26:27]
	v_mul_f64 v[171:172], v[78:79], s[26:27]
	s_mov_b32 s37, 0x3fed1bb4
	s_mov_b32 s36, s18
	v_mul_f64 v[56:57], v[98:99], s[18:19]
	v_fma_f64 v[2:3], v[96:97], s[10:11], -v[58:59]
	v_add_f64 v[66:67], v[66:67], v[4:5]
	v_fma_f64 v[4:5], v[96:97], s[20:21], -v[157:158]
	v_add_f64 v[137:138], v[22:23], v[42:43]
	v_add_f64 v[139:140], v[8:9], v[133:134]
	v_fma_f64 v[147:148], v[92:93], s[28:29], v[129:130]
	v_fma_f64 v[149:150], v[127:128], s[28:29], -v[159:160]
	v_mul_f64 v[133:134], v[131:132], s[36:37]
	v_mul_f64 v[145:146], v[121:122], s[36:37]
	v_fma_f64 v[153:154], v[76:77], s[24:25], v[161:162]
	v_add_f64 v[4:5], v[10:11], v[4:5]
	v_mul_f64 v[163:164], v[111:112], s[30:31]
	v_fma_f64 v[165:166], v[96:97], s[24:25], -v[171:172]
	v_mul_f64 v[173:174], v[98:99], s[30:31]
	v_fma_f64 v[6:7], v[127:128], s[4:5], -v[56:57]
	v_add_f64 v[2:3], v[10:11], v[2:3]
	v_mul_f64 v[62:63], v[121:122], s[16:17]
	v_add_f64 v[117:118], v[24:25], -v[36:37]
	v_mul_f64 v[106:107], v[121:122], s[38:39]
	v_add_f64 v[139:140], v[147:148], v[139:140]
	v_add_f64 v[4:5], v[149:150], v[4:5]
	v_fma_f64 v[147:148], v[100:101], s[4:5], v[133:134]
	v_fma_f64 v[149:150], v[137:138], s[4:5], -v[145:146]
	v_add_f64 v[153:154], v[8:9], v[153:154]
	v_fma_f64 v[169:170], v[92:93], s[20:21], v[163:164]
	v_add_f64 v[165:166], v[10:11], v[165:166]
	v_fma_f64 v[175:176], v[127:128], s[20:21], -v[173:174]
	v_mul_f64 v[167:168], v[131:132], s[6:7]
	v_mul_f64 v[177:178], v[121:122], s[6:7]
	s_mov_b32 s35, 0xbfd207e7
	s_mov_b32 s34, s38
	v_add_f64 v[2:3], v[6:7], v[2:3]
	v_fma_f64 v[6:7], v[137:138], s[20:21], -v[62:63]
	v_add_f64 v[143:144], v[26:27], v[38:39]
	v_mul_f64 v[74:75], v[117:118], s[26:27]
	v_add_f64 v[151:152], v[30:31], -v[34:35]
	v_add_f64 v[141:142], v[28:29], -v[32:33]
	v_fma_f64 v[68:69], v[137:138], s[28:29], -v[106:107]
	v_mul_f64 v[109:110], v[117:118], s[30:31]
	v_add_f64 v[183:184], v[147:148], v[139:140]
	v_add_f64 v[4:5], v[149:150], v[4:5]
	v_mul_f64 v[139:140], v[125:126], s[6:7]
	v_mul_f64 v[149:150], v[117:118], s[6:7]
	v_add_f64 v[169:170], v[169:170], v[153:154]
	v_add_f64 v[179:180], v[175:176], v[165:166]
	v_fma_f64 v[185:186], v[100:101], s[10:11], v[167:168]
	v_fma_f64 v[187:188], v[137:138], s[10:11], -v[177:178]
	v_mul_f64 v[165:166], v[125:126], s[34:35]
	v_mul_f64 v[175:176], v[117:118], s[34:35]
	s_mov_b32 s41, 0x3fe14ced
	s_mov_b32 s40, s6
	v_add_f64 v[2:3], v[6:7], v[2:3]
	v_fma_f64 v[6:7], v[143:144], s[24:25], -v[74:75]
	v_add_f64 v[135:136], v[28:29], v[32:33]
	v_mul_f64 v[80:81], v[151:152], s[34:35]
	v_add_f64 v[155:156], v[30:31], v[34:35]
	v_mul_f64 v[86:87], v[141:142], s[34:35]
	v_add_f64 v[64:65], v[68:69], v[64:65]
	v_fma_f64 v[68:69], v[143:144], s[20:21], -v[109:110]
	v_mul_f64 v[104:105], v[151:152], s[40:41]
	v_mul_f64 v[115:116], v[141:142], s[40:41]
	v_fma_f64 v[191:192], v[113:114], s[10:11], v[139:140]
	v_fma_f64 v[193:194], v[143:144], s[10:11], -v[149:150]
	v_mul_f64 v[147:148], v[151:152], s[26:27]
	v_mul_f64 v[153:154], v[141:142], s[26:27]
	v_add_f64 v[185:186], v[185:186], v[169:170]
	v_add_f64 v[187:188], v[187:188], v[179:180]
	v_fma_f64 v[195:196], v[113:114], s[28:29], v[165:166]
	v_fma_f64 v[197:198], v[143:144], s[28:29], -v[175:176]
	v_mul_f64 v[169:170], v[151:152], s[36:37]
	v_mul_f64 v[179:180], v[141:142], s[36:37]
	v_add_f64 v[2:3], v[6:7], v[2:3]
	v_fma_f64 v[6:7], v[135:136], s[28:29], v[80:81]
	v_fma_f64 v[70:71], v[155:156], s[28:29], -v[86:87]
	v_add_f64 v[64:65], v[68:69], v[64:65]
	v_fma_f64 v[68:69], v[135:136], s[10:11], v[104:105]
	v_fma_f64 v[181:182], v[155:156], s[10:11], -v[115:116]
	v_add_f64 v[183:184], v[191:192], v[183:184]
	v_add_f64 v[191:192], v[193:194], v[4:5]
	v_fma_f64 v[193:194], v[135:136], s[24:25], v[147:148]
	v_fma_f64 v[199:200], v[155:156], s[24:25], -v[153:154]
	v_add_f64 v[185:186], v[195:196], v[185:186]
	;; [unrolled: 4-line block ×3, first 2 shown]
	v_add_f64 v[6:7], v[70:71], v[2:3]
	v_add_f64 v[0:1], v[68:69], v[66:67]
	;; [unrolled: 1-line block ×7, first 2 shown]
	v_mul_lo_u16_e32 v191, 11, v108
	s_barrier
	s_and_saveexec_b64 s[22:23], s[0:1]
	s_cbranch_execz .LBB0_7
; %bb.6:
	v_mul_f64 v[183:184], v[96:97], s[10:11]
	v_mul_f64 v[187:188], v[96:97], s[4:5]
	;; [unrolled: 1-line block ×12, first 2 shown]
	v_fma_f64 v[228:229], v[78:79], s[38:39], v[96:97]
	v_mul_f64 v[222:223], v[137:138], s[28:29]
	v_mul_f64 v[226:227], v[137:138], s[4:5]
	;; [unrolled: 1-line block ×4, first 2 shown]
	v_fma_f64 v[238:239], v[98:99], s[6:7], v[127:128]
	v_mul_f64 v[111:112], v[111:112], s[40:41]
	v_fma_f64 v[242:243], v[76:77], s[28:29], v[84:85]
	v_add_f64 v[228:229], v[10:11], v[228:229]
	s_mov_b32 s7, 0x3fe82f19
	s_mov_b32 s6, s26
	v_mul_f64 v[131:132], v[131:132], s[26:27]
	v_fma_f64 v[246:247], v[121:122], s[6:7], v[137:138]
	v_mul_f64 v[244:245], v[143:144], s[4:5]
	v_fma_f64 v[78:79], v[78:79], s[34:35], v[96:97]
	v_add_f64 v[242:243], v[8:9], v[242:243]
	v_add_f64 v[228:229], v[238:239], v[228:229]
	v_fma_f64 v[238:239], v[92:93], s[10:11], v[111:112]
	v_add_f64 v[171:172], v[171:172], v[198:199]
	v_add_f64 v[14:15], v[10:11], v[14:15]
	;; [unrolled: 1-line block ×3, first 2 shown]
	v_fma_f64 v[96:97], v[117:118], s[18:19], v[244:245]
	v_mul_f64 v[196:197], v[76:77], s[24:25]
	v_fma_f64 v[98:99], v[98:99], s[40:41], v[127:128]
	v_add_f64 v[228:229], v[246:247], v[228:229]
	v_fma_f64 v[246:247], v[100:101], s[24:25], v[131:132]
	v_add_f64 v[238:239], v[238:239], v[242:243]
	v_add_f64 v[78:79], v[10:11], v[78:79]
	v_fma_f64 v[84:85], v[76:77], s[28:29], -v[84:85]
	v_add_f64 v[173:174], v[173:174], v[214:215]
	v_add_f64 v[171:172], v[10:11], v[171:172]
	;; [unrolled: 1-line block ×6, first 2 shown]
	v_mul_f64 v[246:247], v[155:156], s[20:21]
	v_mul_f64 v[181:182], v[76:77], s[10:11]
	;; [unrolled: 1-line block ×8, first 2 shown]
	v_fma_f64 v[198:199], v[141:142], s[30:31], v[246:247]
	v_mul_f64 v[236:237], v[143:144], s[24:25]
	v_mul_f64 v[248:249], v[143:144], s[20:21]
	;; [unrolled: 1-line block ×4, first 2 shown]
	v_fma_f64 v[121:122], v[121:122], s[26:27], v[137:138]
	v_add_f64 v[78:79], v[98:99], v[78:79]
	v_fma_f64 v[92:93], v[92:93], s[10:11], -v[111:112]
	v_add_f64 v[76:77], v[198:199], v[96:97]
	v_add_f64 v[84:85], v[8:9], v[84:85]
	;; [unrolled: 1-line block ×3, first 2 shown]
	v_add_f64 v[161:162], v[196:197], -v[161:162]
	v_add_f64 v[171:172], v[173:174], v[171:172]
	v_add_f64 v[14:15], v[14:15], v[22:23]
	;; [unrolled: 1-line block ×3, first 2 shown]
	v_mov_b32_e32 v190, v217
	v_mul_f64 v[216:217], v[100:101], s[20:21]
	v_mul_f64 v[220:221], v[100:101], s[28:29]
	;; [unrolled: 1-line block ×9, first 2 shown]
	v_fma_f64 v[117:118], v[117:118], s[36:37], v[244:245]
	v_add_f64 v[78:79], v[121:122], v[78:79]
	v_fma_f64 v[100:101], v[100:101], s[24:25], -v[131:132]
	v_add_f64 v[84:85], v[92:93], v[84:85]
	v_add_f64 v[92:93], v[175:176], v[143:144]
	v_add_f64 v[121:122], v[212:213], -v[163:164]
	v_add_f64 v[131:132], v[8:9], v[161:162]
	v_add_f64 v[96:97], v[96:97], v[171:172]
	;; [unrolled: 1-line block ×4, first 2 shown]
	v_mul_f64 v[234:235], v[113:114], s[24:25]
	v_mul_f64 v[240:241], v[113:114], s[20:21]
	;; [unrolled: 1-line block ×4, first 2 shown]
	v_fma_f64 v[196:197], v[113:114], s[4:5], v[125:126]
	v_add_f64 v[78:79], v[117:118], v[78:79]
	v_fma_f64 v[113:114], v[113:114], s[4:5], -v[125:126]
	v_add_f64 v[100:101], v[100:101], v[84:85]
	v_add_f64 v[117:118], v[179:180], v[155:156]
	v_add_f64 v[125:126], v[230:231], -v[167:168]
	v_add_f64 v[121:122], v[121:122], v[131:132]
	v_add_f64 v[92:93], v[92:93], v[96:97]
	;; [unrolled: 1-line block ×7, first 2 shown]
	v_add_f64 v[28:29], v[181:182], -v[52:53]
	v_add_f64 v[119:120], v[192:193], -v[119:120]
	;; [unrolled: 1-line block ×3, first 2 shown]
	v_add_f64 v[100:101], v[113:114], v[100:101]
	v_add_f64 v[113:114], v[242:243], -v[165:166]
	v_add_f64 v[121:122], v[125:126], v[121:122]
	v_add_f64 v[92:93], v[117:118], v[92:93]
	;; [unrolled: 1-line block ×10, first 2 shown]
	v_add_f64 v[54:55], v[200:201], -v[54:55]
	v_add_f64 v[28:29], v[8:9], v[28:29]
	v_add_f64 v[119:120], v[8:9], v[119:120]
	v_add_f64 v[52:53], v[204:205], -v[88:89]
	v_add_f64 v[8:9], v[8:9], v[30:31]
	v_add_f64 v[18:19], v[208:209], -v[129:130]
	v_add_f64 v[113:114], v[113:114], v[121:122]
	v_add_f64 v[121:122], v[145:146], v[226:227]
	;; [unrolled: 1-line block ×9, first 2 shown]
	v_add_f64 v[34:35], v[216:217], -v[60:61]
	v_add_f64 v[28:29], v[54:55], v[28:29]
	v_add_f64 v[30:31], v[220:221], -v[90:91]
	v_add_f64 v[8:9], v[52:53], v[8:9]
	v_add_f64 v[22:23], v[224:225], -v[133:134]
	v_add_f64 v[18:19], v[18:19], v[119:120]
	v_add_f64 v[16:17], v[149:150], v[252:253]
	v_add_f64 v[117:118], v[121:122], v[117:118]
	;; [unrolled: 1-line block ×6, first 2 shown]
	v_mul_f64 v[127:128], v[135:136], s[28:29]
	v_add_f64 v[38:39], v[74:75], v[236:237]
	v_add_f64 v[10:11], v[32:33], v[10:11]
	v_add_f64 v[32:33], v[234:235], -v[72:73]
	v_add_f64 v[28:29], v[34:35], v[28:29]
	v_mul_f64 v[137:138], v[135:136], s[10:11]
	v_add_f64 v[36:37], v[240:241], -v[94:95]
	v_add_f64 v[8:9], v[30:31], v[8:9]
	v_mul_f64 v[111:112], v[135:136], s[24:25]
	;; [unrolled: 3-line block ×3, first 2 shown]
	v_mul_f64 v[151:152], v[151:152], s[16:17]
	v_fma_f64 v[141:142], v[141:142], s[16:17], v[246:247]
	v_add_f64 v[20:21], v[153:154], v[254:255]
	v_add_f64 v[16:17], v[16:17], v[117:118]
	;; [unrolled: 1-line block ×8, first 2 shown]
	v_add_f64 v[40:41], v[127:128], -v[80:81]
	v_add_f64 v[28:29], v[32:33], v[28:29]
	v_add_f64 v[30:31], v[137:138], -v[104:105]
	v_add_f64 v[8:9], v[36:37], v[8:9]
	;; [unrolled: 2-line block ×4, first 2 shown]
	v_fma_f64 v[78:79], v[135:136], s[20:21], -v[151:152]
	v_fma_f64 v[177:178], v[135:136], s[20:21], v[151:152]
	v_add_f64 v[96:97], v[196:197], v[238:239]
	v_add_f64 v[10:11], v[20:21], v[16:17]
	;; [unrolled: 1-line block ×12, first 2 shown]
	v_mov_b32_e32 v217, v190
	v_lshlrev_b32_e32 v24, 4, v191
	ds_write_b128 v24, v[20:23]
	ds_write_b128 v24, v[16:19] offset:16
	ds_write_b128 v24, v[12:15] offset:32
	ds_write_b128 v24, v[8:11] offset:48
	ds_write_b128 v24, v[90:93] offset:64
	ds_write_b128 v24, v[82:85] offset:80
	ds_write_b128 v24, v[74:77] offset:96
	ds_write_b128 v24, v[64:67] offset:112
	ds_write_b128 v24, v[68:71] offset:128
	ds_write_b128 v24, v[0:3] offset:144
	ds_write_b128 v24, v[4:7] offset:160
.LBB0_7:
	s_or_b64 exec, exec, s[22:23]
	s_load_dwordx4 s[4:7], s[2:3], 0x0
	s_movk_i32 s2, 0x75
	v_mul_lo_u16_sdwa v8, v108, s2 dst_sel:DWORD dst_unused:UNUSED_PAD src0_sel:BYTE_0 src1_sel:DWORD
	v_sub_u16_sdwa v9, v108, v8 dst_sel:DWORD dst_unused:UNUSED_PAD src0_sel:DWORD src1_sel:BYTE_1
	v_lshrrev_b16_e32 v9, 1, v9
	v_and_b32_e32 v9, 0x7f, v9
	v_add_u16_sdwa v8, v9, v8 dst_sel:DWORD dst_unused:UNUSED_PAD src0_sel:DWORD src1_sel:BYTE_1
	v_lshrrev_b16_e32 v60, 3, v8
	v_mul_lo_u16_e32 v8, 11, v60
	v_sub_u16_e32 v8, v108, v8
	v_and_b32_e32 v61, 0xff, v8
	v_mul_u32_u24_e32 v8, 6, v61
	v_lshlrev_b32_e32 v32, 4, v8
	s_waitcnt lgkmcnt(0)
	s_barrier
	global_load_dwordx4 v[20:23], v32, s[8:9]
	global_load_dwordx4 v[16:19], v32, s[8:9] offset:16
	global_load_dwordx4 v[12:15], v32, s[8:9] offset:32
	;; [unrolled: 1-line block ×5, first 2 shown]
	ds_read_b128 v[32:35], v189
	ds_read_b128 v[36:39], v189 offset:1584
	ds_read_b128 v[40:43], v189 offset:3168
	;; [unrolled: 1-line block ×6, first 2 shown]
	v_mul_u32_u24_e32 v60, 0x4d, v60
	v_add_lshl_u32 v192, v60, v61, 4
	s_mov_b32 s10, 0x37e14327
	s_mov_b32 s2, 0x36b3c0b5
	;; [unrolled: 1-line block ×16, first 2 shown]
	s_movk_i32 s28, 0x4d
	s_waitcnt vmcnt(0) lgkmcnt(0)
	s_barrier
	v_mul_f64 v[60:61], v[38:39], v[22:23]
	v_mul_f64 v[62:63], v[36:37], v[22:23]
	;; [unrolled: 1-line block ×12, first 2 shown]
	v_fma_f64 v[36:37], v[36:37], v[20:21], -v[60:61]
	v_fma_f64 v[38:39], v[38:39], v[20:21], v[62:63]
	v_fma_f64 v[40:41], v[40:41], v[16:17], -v[72:73]
	v_fma_f64 v[42:43], v[42:43], v[16:17], v[74:75]
	;; [unrolled: 2-line block ×6, first 2 shown]
	v_add_f64 v[60:61], v[36:37], v[56:57]
	v_add_f64 v[62:63], v[38:39], v[58:59]
	v_add_f64 v[36:37], v[36:37], -v[56:57]
	v_add_f64 v[38:39], v[38:39], -v[58:59]
	v_add_f64 v[56:57], v[40:41], v[52:53]
	v_add_f64 v[58:59], v[42:43], v[54:55]
	v_add_f64 v[40:41], v[40:41], -v[52:53]
	v_add_f64 v[42:43], v[42:43], -v[54:55]
	;; [unrolled: 4-line block ×4, first 2 shown]
	v_add_f64 v[60:61], v[60:61], -v[52:53]
	v_add_f64 v[62:63], v[62:63], -v[54:55]
	;; [unrolled: 1-line block ×4, first 2 shown]
	v_add_f64 v[76:77], v[44:45], v[40:41]
	v_add_f64 v[78:79], v[46:47], v[42:43]
	v_add_f64 v[80:81], v[44:45], -v[40:41]
	v_add_f64 v[82:83], v[46:47], -v[42:43]
	;; [unrolled: 1-line block ×4, first 2 shown]
	v_add_f64 v[48:49], v[52:53], v[48:49]
	v_add_f64 v[50:51], v[54:55], v[50:51]
	v_add_f64 v[44:45], v[36:37], -v[44:45]
	v_add_f64 v[46:47], v[38:39], -v[46:47]
	v_add_f64 v[36:37], v[76:77], v[36:37]
	v_add_f64 v[38:39], v[78:79], v[38:39]
	v_mul_f64 v[52:53], v[60:61], s[10:11]
	v_mul_f64 v[54:55], v[62:63], s[10:11]
	;; [unrolled: 1-line block ×8, first 2 shown]
	v_add_f64 v[96:97], v[32:33], v[48:49]
	v_add_f64 v[98:99], v[34:35], v[50:51]
	v_fma_f64 v[32:33], v[56:57], s[2:3], v[52:53]
	v_fma_f64 v[34:35], v[58:59], s[2:3], v[54:55]
	v_fma_f64 v[56:57], v[72:73], s[22:23], -v[60:61]
	v_fma_f64 v[58:59], v[74:75], s[22:23], -v[62:63]
	s_mov_b32 s23, 0xbfe77f67
	v_fma_f64 v[60:61], v[44:45], s[24:25], v[76:77]
	v_fma_f64 v[62:63], v[46:47], s[24:25], v[78:79]
	s_mov_b32 s25, 0xbfd5d0dc
	v_fma_f64 v[40:41], v[40:41], s[16:17], -v[76:77]
	v_fma_f64 v[42:43], v[42:43], s[16:17], -v[78:79]
	;; [unrolled: 1-line block ×6, first 2 shown]
	v_fma_f64 v[48:49], v[48:49], s[18:19], v[96:97]
	v_fma_f64 v[50:51], v[50:51], s[18:19], v[98:99]
	;; [unrolled: 1-line block ×8, first 2 shown]
	v_add_f64 v[32:33], v[32:33], v[48:49]
	v_add_f64 v[34:35], v[34:35], v[50:51]
	;; [unrolled: 1-line block ×6, first 2 shown]
	v_cmp_gt_u16_e64 s[2:3], s28, v108
	v_add_f64 v[72:73], v[62:63], v[32:33]
	v_add_f64 v[74:75], v[34:35], -v[60:61]
	v_add_f64 v[76:77], v[38:39], v[44:45]
	v_add_f64 v[78:79], v[46:47], -v[36:37]
	v_add_f64 v[80:81], v[48:49], -v[42:43]
	v_add_f64 v[82:83], v[40:41], v[50:51]
	v_add_f64 v[84:85], v[42:43], v[48:49]
	v_add_f64 v[86:87], v[50:51], -v[40:41]
	v_add_f64 v[88:89], v[44:45], -v[38:39]
	v_add_f64 v[90:91], v[36:37], v[46:47]
	v_add_f64 v[92:93], v[32:33], -v[62:63]
	v_add_f64 v[94:95], v[60:61], v[34:35]
	ds_write_b128 v192, v[96:99]
	ds_write_b128 v192, v[72:75] offset:176
	ds_write_b128 v192, v[76:79] offset:352
	;; [unrolled: 1-line block ×6, first 2 shown]
	s_waitcnt lgkmcnt(0)
	s_barrier
	s_and_saveexec_b64 s[10:11], s[2:3]
	s_cbranch_execz .LBB0_9
; %bb.8:
	ds_read_b128 v[96:99], v189
	ds_read_b128 v[72:75], v189 offset:1232
	ds_read_b128 v[76:79], v189 offset:2464
	;; [unrolled: 1-line block ×8, first 2 shown]
.LBB0_9:
	s_or_b64 exec, exec, s[10:11]
	v_lshlrev_b32_e32 v32, 3, v108
	s_movk_i32 s10, 0xfd98
	v_add_co_u32_e32 v34, vcc, s10, v32
	v_addc_co_u32_e64 v33, s[10:11], 0, -1, vcc
	v_cndmask_b32_e64 v33, v33, 0, s[2:3]
	v_cndmask_b32_e64 v32, v34, v32, s[2:3]
	v_lshlrev_b64 v[32:33], 4, v[32:33]
	v_mov_b32_e32 v34, s9
	v_add_co_u32_e32 v100, vcc, s8, v32
	v_addc_co_u32_e32 v101, vcc, v34, v33, vcc
	global_load_dwordx4 v[218:221], v[100:101], off offset:1056
	global_load_dwordx4 v[44:47], v[100:101], off offset:1072
	;; [unrolled: 1-line block ×8, first 2 shown]
	s_mov_b32 s26, 0xa2cf5039
	s_mov_b32 s19, 0x3fe491b7
	s_mov_b32 s18, 0x523c161c
	s_mov_b32 s27, 0x3fe8836f
	s_mov_b32 s16, 0x8c811c17
	s_mov_b32 s24, 0x7e0b738b
	s_mov_b32 s17, 0x3fef838b
	s_mov_b32 s25, 0x3fc63a1a
	s_mov_b32 s8, 0xe8584cab
	s_mov_b32 s9, 0x3febb67a
	s_mov_b32 s10, 0x748a0bf8
	s_mov_b32 s20, 0x42522d1b
	s_mov_b32 s11, 0x3fd5e3a8
	s_mov_b32 s21, 0xbfee11f6
	s_mov_b32 s23, 0xbfebb67a
	s_mov_b32 s22, s8
	s_waitcnt vmcnt(7) lgkmcnt(7)
	v_mul_f64 v[100:101], v[74:75], v[220:221]
	v_mul_f64 v[102:103], v[72:73], v[220:221]
	s_waitcnt vmcnt(6) lgkmcnt(6)
	v_mul_f64 v[104:105], v[78:79], v[46:47]
	s_waitcnt vmcnt(4) lgkmcnt(4)
	v_mul_f64 v[113:114], v[86:87], v[38:39]
	v_mul_f64 v[115:116], v[84:85], v[38:39]
	s_waitcnt vmcnt(3) lgkmcnt(3)
	v_mul_f64 v[117:118], v[90:91], v[58:59]
	;; [unrolled: 3-line block ×3, first 2 shown]
	s_waitcnt vmcnt(0) lgkmcnt(0)
	v_mul_f64 v[129:130], v[70:71], v[54:55]
	v_mul_f64 v[131:132], v[68:69], v[54:55]
	v_mul_f64 v[106:107], v[76:77], v[46:47]
	v_mul_f64 v[109:110], v[82:83], v[224:225]
	v_mul_f64 v[111:112], v[80:81], v[224:225]
	v_mul_f64 v[121:122], v[94:95], v[50:51]
	v_mul_f64 v[123:124], v[92:93], v[50:51]
	v_mul_f64 v[127:128], v[64:65], v[62:63]
	v_fma_f64 v[72:73], v[72:73], v[218:219], -v[100:101]
	v_fma_f64 v[74:75], v[74:75], v[218:219], v[102:103]
	v_fma_f64 v[76:77], v[76:77], v[44:45], -v[104:105]
	v_fma_f64 v[84:85], v[84:85], v[36:37], -v[113:114]
	v_fma_f64 v[86:87], v[86:87], v[36:37], v[115:116]
	v_fma_f64 v[68:69], v[68:69], v[52:53], -v[129:130]
	v_fma_f64 v[70:71], v[70:71], v[52:53], v[131:132]
	v_fma_f64 v[64:65], v[64:65], v[60:61], -v[125:126]
	v_fma_f64 v[88:89], v[88:89], v[56:57], -v[117:118]
	v_fma_f64 v[90:91], v[90:91], v[56:57], v[119:120]
	v_fma_f64 v[78:79], v[78:79], v[44:45], v[106:107]
	v_fma_f64 v[80:81], v[80:81], v[222:223], -v[109:110]
	v_fma_f64 v[82:83], v[82:83], v[222:223], v[111:112]
	v_fma_f64 v[66:67], v[66:67], v[60:61], v[127:128]
	v_fma_f64 v[92:93], v[92:93], v[48:49], -v[121:122]
	v_fma_f64 v[94:95], v[94:95], v[48:49], v[123:124]
	v_add_f64 v[100:101], v[72:73], v[68:69]
	v_add_f64 v[102:103], v[74:75], v[70:71]
	;; [unrolled: 1-line block ×3, first 2 shown]
	v_add_f64 v[113:114], v[72:73], -v[68:69]
	v_add_f64 v[115:116], v[74:75], -v[70:71]
	;; [unrolled: 1-line block ×3, first 2 shown]
	v_add_f64 v[70:71], v[84:85], v[88:89]
	v_add_f64 v[76:77], v[86:87], v[90:91]
	;; [unrolled: 1-line block ×5, first 2 shown]
	v_add_f64 v[66:67], v[78:79], -v[66:67]
	v_add_f64 v[72:73], v[80:81], -v[92:93]
	;; [unrolled: 1-line block ×5, first 2 shown]
	v_mul_f64 v[80:81], v[113:114], s[18:19]
	v_mul_f64 v[82:83], v[115:116], s[18:19]
	v_fma_f64 v[92:93], v[100:101], s[26:27], v[96:97]
	v_fma_f64 v[94:95], v[102:103], s[26:27], v[98:99]
	;; [unrolled: 1-line block ×4, first 2 shown]
	s_mov_b32 s19, 0xbfe491b7
	v_mul_f64 v[133:134], v[68:69], s[16:17]
	v_mul_f64 v[135:136], v[78:79], s[16:17]
	v_fma_f64 v[137:138], v[104:105], s[26:27], v[96:97]
	v_fma_f64 v[139:140], v[106:107], s[26:27], v[98:99]
	v_mul_f64 v[141:142], v[68:69], s[18:19]
	v_mul_f64 v[143:144], v[78:79], s[18:19]
	v_fma_f64 v[80:81], v[64:65], s[16:17], v[80:81]
	v_fma_f64 v[82:83], v[66:67], s[16:17], v[82:83]
	;; [unrolled: 1-line block ×6, first 2 shown]
	v_add_f64 v[129:130], v[104:105], v[100:101]
	v_add_f64 v[131:132], v[106:107], v[102:103]
	v_fma_f64 v[133:134], v[64:65], s[18:19], -v[133:134]
	v_fma_f64 v[135:136], v[66:67], s[18:19], -v[135:136]
	v_fma_f64 v[137:138], v[70:71], s[24:25], v[137:138]
	v_fma_f64 v[139:140], v[76:77], s[24:25], v[139:140]
	;; [unrolled: 1-line block ×6, first 2 shown]
	v_fma_f64 v[92:93], v[109:110], -0.5, v[92:93]
	v_fma_f64 v[94:95], v[111:112], -0.5, v[94:95]
	;; [unrolled: 1-line block ×4, first 2 shown]
	v_add_f64 v[121:122], v[68:69], v[113:114]
	v_add_f64 v[123:124], v[78:79], v[115:116]
	v_add_f64 v[125:126], v[96:97], v[109:110]
	v_add_f64 v[127:128], v[98:99], v[111:112]
	v_add_f64 v[145:146], v[70:71], v[129:130]
	v_add_f64 v[147:148], v[76:77], v[131:132]
	v_add_f64 v[129:130], v[109:110], v[129:130]
	v_add_f64 v[131:132], v[111:112], v[131:132]
	v_fma_f64 v[141:142], v[72:73], s[22:23], v[141:142]
	v_fma_f64 v[143:144], v[74:75], s[22:23], v[143:144]
	;; [unrolled: 1-line block ×10, first 2 shown]
	v_fma_f64 v[106:107], v[109:110], -0.5, v[137:138]
	v_fma_f64 v[109:110], v[111:112], -0.5, v[139:140]
	v_add_f64 v[121:122], v[121:122], -v[64:65]
	v_add_f64 v[123:124], v[123:124], -v[66:67]
	v_fma_f64 v[76:77], v[145:146], -0.5, v[125:126]
	v_fma_f64 v[92:93], v[147:148], -0.5, v[127:128]
	v_fma_f64 v[66:67], v[66:67], s[10:11], v[143:144]
	v_fma_f64 v[64:65], v[64:65], s[10:11], v[141:142]
	v_add_f64 v[68:69], v[78:79], v[68:69]
	v_fma_f64 v[111:112], v[113:114], s[10:11], v[94:95]
	v_fma_f64 v[104:105], v[115:116], s[10:11], v[104:105]
	v_add_f64 v[84:85], v[84:85], v[129:130]
	v_add_f64 v[86:87], v[86:87], v[131:132]
	v_fma_f64 v[94:95], v[100:101], s[20:21], v[106:107]
	v_fma_f64 v[100:101], v[102:103], s[20:21], v[109:110]
	v_add_f64 v[70:71], v[70:71], -v[149:150]
	v_add_f64 v[72:73], v[66:67], v[80:81]
	v_add_f64 v[74:75], v[82:83], -v[64:65]
	v_fma_f64 v[80:81], v[78:79], -2.0, v[68:69]
	v_mul_f64 v[102:103], v[121:122], s[8:9]
	v_mul_f64 v[106:107], v[123:124], s[8:9]
	v_fma_f64 v[76:77], v[123:124], s[8:9], v[76:77]
	v_fma_f64 v[78:79], v[121:122], s[22:23], v[92:93]
	v_add_f64 v[109:110], v[88:89], v[84:85]
	v_add_f64 v[113:114], v[90:91], v[86:87]
	;; [unrolled: 1-line block ×3, first 2 shown]
	v_add_f64 v[86:87], v[100:101], -v[111:112]
	v_fma_f64 v[82:83], v[149:150], 2.0, v[70:71]
	v_fma_f64 v[92:93], v[66:67], -2.0, v[72:73]
	v_fma_f64 v[94:95], v[64:65], 2.0, v[74:75]
	v_fma_f64 v[88:89], v[106:107], -2.0, v[76:77]
	v_fma_f64 v[90:91], v[102:103], 2.0, v[78:79]
	v_add_f64 v[64:65], v[96:97], v[109:110]
	v_add_f64 v[66:67], v[98:99], v[113:114]
	v_fma_f64 v[96:97], v[104:105], -2.0, v[84:85]
	v_fma_f64 v[98:99], v[111:112], 2.0, v[86:87]
	s_and_saveexec_b64 s[8:9], s[2:3]
	s_cbranch_execz .LBB0_11
; %bb.10:
	ds_write_b128 v189, v[64:67]
	ds_write_b128 v189, v[68:71] offset:1232
	ds_write_b128 v189, v[72:75] offset:2464
	;; [unrolled: 1-line block ×8, first 2 shown]
.LBB0_11:
	s_or_b64 exec, exec, s[8:9]
	s_waitcnt lgkmcnt(0)
	s_barrier
	s_and_saveexec_b64 s[8:9], s[0:1]
	s_cbranch_execz .LBB0_13
; %bb.12:
	v_mov_b32_e32 v32, s15
	v_add_co_u32_e32 v33, vcc, s14, v189
	v_addc_co_u32_e32 v32, vcc, 0, v32, vcc
	v_add_co_u32_e32 v117, vcc, 0x2b50, v33
	v_addc_co_u32_e32 v118, vcc, 0, v32, vcc
	;; [unrolled: 2-line block ×3, first 2 shown]
	s_movk_i32 s11, 0x4000
	v_add_co_u32_e32 v133, vcc, s11, v33
	v_addc_co_u32_e32 v134, vcc, 0, v32, vcc
	s_movk_i32 s11, 0x5000
	v_add_co_u32_e32 v137, vcc, s11, v33
	s_movk_i32 s10, 0x3000
	v_addc_co_u32_e32 v138, vcc, 0, v32, vcc
	global_load_dwordx4 v[100:103], v[119:120], off offset:2896
	global_load_dwordx4 v[104:107], v[117:118], off offset:1008
	;; [unrolled: 1-line block ×4, first 2 shown]
                                        ; kill: killed $vgpr119 killed $vgpr120
	s_nop 0
	global_load_dwordx4 v[117:120], v[117:118], off offset:4032
	v_add_co_u32_e32 v141, vcc, s10, v33
	global_load_dwordx4 v[121:124], v[133:134], off offset:752
	global_load_dwordx4 v[125:128], v[133:134], off offset:1760
	;; [unrolled: 1-line block ×3, first 2 shown]
	s_nop 0
	global_load_dwordx4 v[133:136], v[133:134], off offset:3776
	v_addc_co_u32_e32 v142, vcc, 0, v32, vcc
	global_load_dwordx4 v[137:140], v[137:138], off offset:688
	s_nop 0
	global_load_dwordx4 v[141:144], v[141:142], off offset:3840
	ds_read_b128 v[145:148], v189
	ds_read_b128 v[149:152], v189 offset:1008
	ds_read_b128 v[153:156], v189 offset:2016
	;; [unrolled: 1-line block ×10, first 2 shown]
	s_waitcnt vmcnt(10) lgkmcnt(10)
	v_mul_f64 v[213:214], v[145:146], v[102:103]
	s_waitcnt vmcnt(9) lgkmcnt(9)
	v_mul_f64 v[193:194], v[151:152], v[106:107]
	v_mul_f64 v[106:107], v[149:150], v[106:107]
	s_waitcnt vmcnt(8) lgkmcnt(8)
	v_mul_f64 v[195:196], v[155:156], v[111:112]
	;; [unrolled: 3-line block ×9, first 2 shown]
	v_mul_f64 v[211:212], v[185:186], v[139:140]
	v_mul_f64 v[139:140], v[147:148], v[102:103]
	s_waitcnt vmcnt(0)
	v_mul_f64 v[215:216], v[167:168], v[143:144]
	v_mul_f64 v[143:144], v[165:166], v[143:144]
	v_fma_f64 v[102:103], v[149:150], v[104:105], -v[193:194]
	v_fma_f64 v[104:105], v[151:152], v[104:105], v[106:107]
	v_fma_f64 v[149:150], v[153:154], v[109:110], -v[195:196]
	v_fma_f64 v[151:152], v[155:156], v[109:110], v[111:112]
	;; [unrolled: 2-line block ×11, first 2 shown]
	ds_write_b128 v189, v[102:105] offset:1008
	ds_write_b128 v189, v[149:152] offset:2016
	;; [unrolled: 1-line block ×4, first 2 shown]
	ds_write_b128 v189, v[133:136]
	ds_write_b128 v189, v[139:142] offset:5040
	ds_write_b128 v189, v[117:120] offset:6048
	ds_write_b128 v189, v[121:124] offset:7056
	ds_write_b128 v189, v[125:128] offset:8064
	ds_write_b128 v189, v[129:132] offset:9072
	ds_write_b128 v189, v[143:146] offset:10080
.LBB0_13:
	s_or_b64 exec, exec, s[8:9]
	s_waitcnt lgkmcnt(0)
	s_barrier
	s_and_saveexec_b64 s[8:9], s[0:1]
	s_cbranch_execz .LBB0_15
; %bb.14:
	ds_read_b128 v[64:67], v189
	ds_read_b128 v[68:71], v189 offset:1008
	ds_read_b128 v[72:75], v189 offset:2016
	;; [unrolled: 1-line block ×10, first 2 shown]
.LBB0_15:
	s_or_b64 exec, exec, s[8:9]
	s_waitcnt lgkmcnt(0)
	v_add_f64 v[113:114], v[70:71], -v[6:7]
	v_add_f64 v[111:112], v[70:71], v[6:7]
	s_mov_b32 s8, 0x640f44db
	s_mov_b32 s16, 0x43842ef
	;; [unrolled: 1-line block ×4, first 2 shown]
	v_add_f64 v[109:110], v[68:69], v[4:5]
	v_add_f64 v[129:130], v[68:69], -v[4:5]
	v_mul_f64 v[149:150], v[113:114], s[16:17]
	v_mul_f64 v[153:154], v[111:112], s[8:9]
	v_add_f64 v[119:120], v[74:75], -v[2:3]
	v_add_f64 v[117:118], v[74:75], v[2:3]
	s_mov_b32 s10, 0x7f775887
	s_mov_b32 s20, 0xbb3a28a1
	;; [unrolled: 1-line block ×8, first 2 shown]
	v_mul_f64 v[157:158], v[113:114], s[20:21]
	v_fma_f64 v[100:101], v[109:110], s[8:9], -v[149:150]
	v_fma_f64 v[102:103], v[129:130], s[16:17], v[153:154]
	v_mul_f64 v[163:164], v[111:112], s[10:11]
	v_add_f64 v[115:116], v[72:73], v[0:1]
	v_add_f64 v[125:126], v[72:73], -v[0:1]
	v_mul_f64 v[155:156], v[119:120], s[36:37]
	v_mul_f64 v[161:162], v[117:118], s[18:19]
	v_add_f64 v[127:128], v[78:79], -v[82:83]
	s_mov_b32 s39, 0x3fefac9e
	s_mov_b32 s38, s16
	;; [unrolled: 1-line block ×4, first 2 shown]
	v_add_f64 v[100:101], v[64:65], v[100:101]
	v_add_f64 v[102:103], v[66:67], v[102:103]
	v_fma_f64 v[104:105], v[109:110], s[10:11], -v[157:158]
	v_fma_f64 v[106:107], v[129:130], s[20:21], v[163:164]
	v_fma_f64 v[131:132], v[115:116], s[18:19], -v[155:156]
	v_fma_f64 v[133:134], v[125:126], s[36:37], v[161:162]
	v_mul_f64 v[165:166], v[119:120], s[38:39]
	v_mul_f64 v[171:172], v[117:118], s[8:9]
	v_add_f64 v[123:124], v[78:79], v[82:83]
	v_add_f64 v[121:122], v[76:77], v[80:81]
	v_mul_f64 v[151:152], v[127:128], s[26:27]
	s_mov_b32 s24, 0xd9c712b6
	s_mov_b32 s30, 0xf8bb580b
	;; [unrolled: 1-line block ×4, first 2 shown]
	v_add_f64 v[135:136], v[76:77], -v[80:81]
	v_mul_f64 v[169:170], v[123:124], s[24:25]
	v_add_f64 v[104:105], v[64:65], v[104:105]
	v_add_f64 v[106:107], v[66:67], v[106:107]
	;; [unrolled: 1-line block ×4, first 2 shown]
	v_fma_f64 v[131:132], v[115:116], s[8:9], -v[165:166]
	v_fma_f64 v[133:134], v[125:126], s[38:39], v[171:172]
	v_fma_f64 v[137:138], v[121:122], s[24:25], -v[151:152]
	v_mul_f64 v[173:174], v[127:128], s[30:31]
	s_mov_b32 s28, 0x8764f0ba
	s_mov_b32 s29, 0x3feaeb8c
	v_fma_f64 v[139:140], v[135:136], s[26:27], v[169:170]
	v_mul_f64 v[175:176], v[123:124], s[28:29]
	v_add_f64 v[104:105], v[131:132], v[104:105]
	v_add_f64 v[106:107], v[133:134], v[106:107]
	v_add_f64 v[141:142], v[86:87], -v[94:95]
	v_add_f64 v[133:134], v[86:87], v[94:95]
	v_add_f64 v[100:101], v[137:138], v[100:101]
	v_fma_f64 v[137:138], v[121:122], s[28:29], -v[173:174]
	s_mov_b32 s34, s36
	v_add_f64 v[102:103], v[139:140], v[102:103]
	v_fma_f64 v[139:140], v[135:136], s[30:31], v[175:176]
	v_add_f64 v[131:132], v[84:85], v[92:93]
	v_add_f64 v[143:144], v[84:85], -v[92:93]
	v_mul_f64 v[159:160], v[141:142], s[30:31]
	v_mul_f64 v[177:178], v[133:134], s[28:29]
	;; [unrolled: 1-line block ×4, first 2 shown]
	v_add_f64 v[104:105], v[137:138], v[104:105]
	v_add_f64 v[145:146], v[98:99], -v[90:91]
	v_add_f64 v[137:138], v[98:99], v[90:91]
	v_add_f64 v[106:107], v[139:140], v[106:107]
	v_fma_f64 v[193:194], v[131:132], s[28:29], -v[159:160]
	v_fma_f64 v[195:196], v[143:144], s[30:31], v[177:178]
	v_fma_f64 v[197:198], v[131:132], s[18:19], -v[179:180]
	v_fma_f64 v[199:200], v[143:144], s[34:35], v[183:184]
	v_add_f64 v[139:140], v[96:97], v[88:89]
	v_add_f64 v[147:148], v[96:97], -v[88:89]
	v_mul_f64 v[167:168], v[145:146], s[20:21]
	v_mul_f64 v[181:182], v[137:138], s[10:11]
	;; [unrolled: 1-line block ×4, first 2 shown]
	v_add_f64 v[100:101], v[193:194], v[100:101]
	v_add_f64 v[102:103], v[195:196], v[102:103]
	;; [unrolled: 1-line block ×4, first 2 shown]
	v_fma_f64 v[193:194], v[139:140], s[10:11], -v[167:168]
	v_fma_f64 v[195:196], v[147:148], s[20:21], v[181:182]
	v_fma_f64 v[197:198], v[139:140], s[24:25], -v[185:186]
	v_fma_f64 v[199:200], v[147:148], s[26:27], v[187:188]
	s_barrier
	v_add_f64 v[100:101], v[193:194], v[100:101]
	v_add_f64 v[102:103], v[195:196], v[102:103]
	;; [unrolled: 1-line block ×4, first 2 shown]
	s_and_saveexec_b64 s[22:23], s[0:1]
	s_cbranch_execz .LBB0_17
; %bb.16:
	v_mul_f64 v[201:202], v[109:110], s[10:11]
	v_mul_f64 v[207:208], v[115:116], s[8:9]
	;; [unrolled: 1-line block ×3, first 2 shown]
	buffer_store_dword v36, off, s[44:47], 0 ; 4-byte Folded Spill
	s_nop 0
	buffer_store_dword v37, off, s[44:47], 0 offset:4 ; 4-byte Folded Spill
	buffer_store_dword v38, off, s[44:47], 0 offset:8 ; 4-byte Folded Spill
	;; [unrolled: 1-line block ×3, first 2 shown]
	v_mul_f64 v[32:33], v[121:122], s[24:25]
	v_mul_f64 v[38:39], v[115:116], s[18:19]
	;; [unrolled: 1-line block ×3, first 2 shown]
	s_mov_b32 s40, s30
	v_add_f64 v[157:158], v[201:202], v[157:158]
	v_add_f64 v[165:166], v[207:208], v[165:166]
	;; [unrolled: 1-line block ×3, first 2 shown]
	buffer_store_dword v32, off, s[44:47], 0 offset:16 ; 4-byte Folded Spill
	s_nop 0
	buffer_store_dword v33, off, s[44:47], 0 offset:20 ; 4-byte Folded Spill
	v_mov_b32_e32 v203, v218
	v_mov_b32_e32 v40, v222
	;; [unrolled: 1-line block ×3, first 2 shown]
	v_add_f64 v[157:158], v[64:65], v[157:158]
	v_mov_b32_e32 v204, v219
	v_mov_b32_e32 v205, v220
	;; [unrolled: 1-line block ×3, first 2 shown]
	v_mul_f64 v[217:218], v[113:114], s[34:35]
	v_mul_f64 v[219:220], v[125:126], s[40:41]
	v_mov_b32_e32 v41, v223
	v_mov_b32_e32 v42, v224
	v_add_f64 v[157:158], v[165:166], v[157:158]
	v_mov_b32_e32 v43, v225
	v_fma_f64 v[221:222], v[111:112], s[18:19], v[195:196]
	v_mul_f64 v[229:230], v[135:136], s[20:21]
	v_mul_f64 v[231:232], v[119:120], s[40:41]
	v_fma_f64 v[233:234], v[109:110], s[18:19], -v[217:218]
	v_fma_f64 v[235:236], v[117:118], s[28:29], v[219:220]
	v_mul_f64 v[241:242], v[143:144], s[26:27]
	v_add_f64 v[157:158], v[173:174], v[157:158]
	v_add_f64 v[173:174], v[38:39], v[155:156]
	buffer_load_dword v38, off, s[44:47], 0 offset:16 ; 4-byte Folded Reload
	buffer_load_dword v39, off, s[44:47], 0 offset:20 ; 4-byte Folded Reload
	v_add_f64 v[221:222], v[66:67], v[221:222]
	v_mul_f64 v[243:244], v[127:128], s[20:21]
	v_fma_f64 v[245:246], v[115:116], s[28:29], -v[231:232]
	v_add_f64 v[233:234], v[64:65], v[233:234]
	v_fma_f64 v[247:248], v[123:124], s[10:11], v[229:230]
	v_mul_f64 v[249:250], v[147:148], s[16:17]
	v_fma_f64 v[195:196], v[111:112], s[18:19], -v[195:196]
	v_mul_f64 v[193:194], v[129:130], s[20:21]
	v_add_f64 v[221:222], v[235:236], v[221:222]
	v_fma_f64 v[253:254], v[121:122], s[10:11], -v[243:244]
	v_mul_f64 v[251:252], v[141:142], s[26:27]
	v_add_f64 v[233:234], v[245:246], v[233:234]
	v_fma_f64 v[245:246], v[133:134], s[24:25], v[241:242]
	v_fma_f64 v[34:35], v[117:118], s[28:29], -v[219:220]
	v_add_f64 v[195:196], v[66:67], v[195:196]
	v_fma_f64 v[217:218], v[109:110], s[18:19], v[217:218]
	v_add_f64 v[221:222], v[247:248], v[221:222]
	v_mul_f64 v[199:200], v[129:130], s[16:17]
	v_mul_f64 v[209:210], v[125:126], s[38:39]
	v_add_f64 v[219:220], v[253:254], v[233:234]
	v_fma_f64 v[233:234], v[137:138], s[8:9], v[249:250]
	v_mov_b32_e32 v37, v191
	v_mul_f64 v[190:191], v[145:146], s[16:17]
	v_fma_f64 v[32:33], v[131:132], s[24:25], -v[251:252]
	v_add_f64 v[221:222], v[245:246], v[221:222]
	v_fma_f64 v[229:230], v[123:124], s[10:11], -v[229:230]
	v_add_f64 v[34:35], v[34:35], v[195:196]
	v_add_f64 v[217:218], v[64:65], v[217:218]
	v_add_f64 v[163:164], v[163:164], -v[193:194]
	v_mul_f64 v[197:198], v[125:126], s[36:37]
	v_mul_f64 v[223:224], v[135:136], s[30:31]
	v_fma_f64 v[253:254], v[139:140], s[8:9], -v[190:191]
	v_add_f64 v[195:196], v[233:234], v[221:222]
	v_fma_f64 v[221:222], v[115:116], s[28:29], v[231:232]
	v_add_f64 v[32:33], v[32:33], v[219:220]
	v_fma_f64 v[231:232], v[133:134], s[24:25], -v[241:242]
	v_add_f64 v[34:35], v[229:230], v[34:35]
	v_fma_f64 v[229:230], v[121:122], s[10:11], v[243:244]
	v_add_f64 v[171:172], v[171:172], -v[209:210]
	v_add_f64 v[163:164], v[66:67], v[163:164]
	v_add_f64 v[153:154], v[153:154], -v[199:200]
	v_add_f64 v[201:202], v[221:222], v[217:218]
	v_mul_f64 v[211:212], v[109:110], s[8:9]
	v_mul_f64 v[213:214], v[135:136], s[26:27]
	;; [unrolled: 1-line block ×3, first 2 shown]
	v_add_f64 v[193:194], v[253:254], v[32:33]
	v_fma_f64 v[32:33], v[137:138], s[8:9], -v[249:250]
	v_add_f64 v[34:35], v[231:232], v[34:35]
	v_fma_f64 v[209:210], v[131:132], s[24:25], v[251:252]
	v_add_f64 v[199:200], v[229:230], v[201:202]
	v_add_f64 v[175:176], v[175:176], -v[223:224]
	v_add_f64 v[163:164], v[171:172], v[163:164]
	v_add_f64 v[161:162], v[161:162], -v[197:198]
	v_add_f64 v[153:154], v[66:67], v[153:154]
	v_mul_f64 v[227:228], v[143:144], s[30:31]
	v_mul_f64 v[237:238], v[131:132], s[18:19]
	;; [unrolled: 1-line block ×3, first 2 shown]
	v_fma_f64 v[171:172], v[139:140], s[8:9], v[190:191]
	v_add_f64 v[165:166], v[209:210], v[199:200]
	v_add_f64 v[183:184], v[183:184], -v[239:240]
	v_add_f64 v[175:176], v[175:176], v[163:164]
	v_add_f64 v[163:164], v[32:33], v[34:35]
	v_add_f64 v[32:33], v[169:170], -v[213:214]
	v_add_f64 v[34:35], v[161:162], v[153:154]
	v_add_f64 v[149:150], v[211:212], v[149:150]
	s_mov_b32 s27, 0xbfed1bb4
	v_mul_f64 v[247:248], v[147:148], s[20:21]
	v_mul_f64 v[245:246], v[139:140], s[24:25]
	v_add_f64 v[153:154], v[237:238], v[179:180]
	v_add_f64 v[161:162], v[171:172], v[165:166]
	v_add_f64 v[165:166], v[187:188], -v[219:220]
	v_add_f64 v[169:170], v[183:184], v[175:176]
	v_add_f64 v[171:172], v[177:178], -v[227:228]
	v_add_f64 v[32:33], v[32:33], v[34:35]
	v_mul_f64 v[175:176], v[129:130], s[26:27]
	v_add_f64 v[149:150], v[64:65], v[149:150]
	v_mul_f64 v[225:226], v[131:132], s[28:29]
	v_add_f64 v[34:35], v[245:246], v[185:186]
	v_add_f64 v[153:154], v[153:154], v[157:158]
	v_add_f64 v[157:158], v[181:182], -v[247:248]
	v_add_f64 v[155:156], v[165:166], v[169:170]
	v_add_f64 v[32:33], v[171:172], v[32:33]
	s_waitcnt vmcnt(0)
	v_add_f64 v[165:166], v[38:39], v[151:152]
	v_mul_f64 v[169:170], v[125:126], s[20:21]
	v_fma_f64 v[171:172], v[111:112], s[24:25], v[175:176]
	v_add_f64 v[149:150], v[173:174], v[149:150]
	v_add_f64 v[153:154], v[34:35], v[153:154]
	v_mul_f64 v[34:35], v[113:114], s[26:27]
	v_mul_f64 v[173:174], v[135:136], s[36:37]
	v_add_f64 v[151:152], v[157:158], v[32:33]
	v_add_f64 v[32:33], v[225:226], v[159:160]
	v_fma_f64 v[177:178], v[117:118], s[10:11], v[169:170]
	v_add_f64 v[171:172], v[66:67], v[171:172]
	v_add_f64 v[149:150], v[165:166], v[149:150]
	;; [unrolled: 1-line block ×3, first 2 shown]
	v_mul_f64 v[235:236], v[139:140], s[10:11]
	v_mul_f64 v[157:158], v[119:120], s[20:21]
	v_fma_f64 v[159:160], v[109:110], s[24:25], -v[34:35]
	v_fma_f64 v[183:184], v[123:124], s[18:19], v[173:174]
	v_add_f64 v[70:71], v[66:67], v[70:71]
	v_add_f64 v[171:172], v[177:178], v[171:172]
	;; [unrolled: 1-line block ×3, first 2 shown]
	v_fma_f64 v[149:150], v[111:112], s[24:25], -v[175:176]
	v_add_f64 v[72:73], v[68:69], v[72:73]
	v_add_f64 v[165:166], v[235:236], v[167:168]
	v_mul_f64 v[167:168], v[127:128], s[36:37]
	v_fma_f64 v[179:180], v[115:116], s[10:11], -v[157:158]
	v_add_f64 v[159:160], v[64:65], v[159:160]
	v_add_f64 v[171:172], v[183:184], v[171:172]
	v_fma_f64 v[169:170], v[117:118], s[10:11], -v[169:170]
	v_add_f64 v[183:184], v[66:67], v[149:150]
	v_add_f64 v[70:71], v[70:71], v[74:75]
	;; [unrolled: 1-line block ×3, first 2 shown]
	v_mul_f64 v[181:182], v[143:144], s[38:39]
	v_fma_f64 v[177:178], v[121:122], s[18:19], -v[167:168]
	v_add_f64 v[159:160], v[179:180], v[159:160]
	v_mul_f64 v[179:180], v[147:148], s[40:41]
	v_add_f64 v[149:150], v[165:166], v[32:33]
	v_fma_f64 v[165:166], v[123:124], s[18:19], -v[173:174]
	v_fma_f64 v[34:35], v[109:110], s[24:25], v[34:35]
	v_add_f64 v[169:170], v[169:170], v[183:184]
	v_mul_f64 v[129:130], v[129:130], s[30:31]
	v_add_f64 v[70:71], v[70:71], v[78:79]
	v_add_f64 v[72:73], v[72:73], v[84:85]
	v_mul_f64 v[84:85], v[113:114], s[30:31]
	v_add_f64 v[159:160], v[177:178], v[159:160]
	v_fma_f64 v[32:33], v[137:138], s[28:29], v[179:180]
	v_fma_f64 v[177:178], v[133:134], s[8:9], -v[181:182]
	v_fma_f64 v[157:158], v[115:116], s[10:11], v[157:158]
	v_add_f64 v[34:35], v[64:65], v[34:35]
	v_add_f64 v[165:166], v[165:166], v[169:170]
	v_fma_f64 v[169:170], v[137:138], s[28:29], -v[179:180]
	v_mul_f64 v[125:126], v[125:126], s[26:27]
	v_fma_f64 v[179:180], v[111:112], s[28:29], v[129:130]
	v_add_f64 v[70:71], v[70:71], v[86:87]
	v_fma_f64 v[111:112], v[111:112], s[28:29], -v[129:130]
	v_mul_f64 v[113:114], v[119:120], s[26:27]
	v_add_f64 v[72:73], v[72:73], v[96:97]
	v_fma_f64 v[96:97], v[109:110], s[28:29], v[84:85]
	v_add_f64 v[34:35], v[157:158], v[34:35]
	v_add_f64 v[157:158], v[177:178], v[165:166]
	v_mul_f64 v[135:136], v[135:136], s[16:17]
	v_fma_f64 v[74:75], v[117:118], s[24:25], v[125:126]
	v_add_f64 v[165:166], v[66:67], v[179:180]
	v_add_f64 v[70:71], v[70:71], v[98:99]
	v_mul_f64 v[98:99], v[127:128], s[16:17]
	v_fma_f64 v[84:85], v[109:110], s[28:29], -v[84:85]
	v_fma_f64 v[109:110], v[117:118], s[24:25], -v[125:126]
	v_add_f64 v[66:67], v[66:67], v[111:112]
	v_fma_f64 v[111:112], v[115:116], s[24:25], v[113:114]
	v_add_f64 v[72:73], v[72:73], v[88:89]
	v_add_f64 v[88:89], v[64:65], v[96:97]
	v_fma_f64 v[76:77], v[123:124], s[8:9], v[135:136]
	v_add_f64 v[74:75], v[74:75], v[165:166]
	v_mul_f64 v[86:87], v[141:142], s[20:21]
	v_add_f64 v[64:65], v[64:65], v[84:85]
	v_fma_f64 v[84:85], v[123:124], s[8:9], -v[135:136]
	v_add_f64 v[66:67], v[109:110], v[66:67]
	v_fma_f64 v[96:97], v[121:122], s[8:9], v[98:99]
	v_add_f64 v[72:73], v[72:73], v[92:93]
	v_add_f64 v[88:89], v[111:112], v[88:89]
	v_fma_f64 v[185:186], v[133:134], s[8:9], v[181:182]
	v_add_f64 v[74:75], v[76:77], v[74:75]
	v_mul_f64 v[76:77], v[145:146], s[34:35]
	v_mov_b32_e32 v217, v36
	v_add_f64 v[66:67], v[84:85], v[66:67]
	v_fma_f64 v[84:85], v[131:132], s[10:11], v[86:87]
	v_add_f64 v[72:73], v[72:73], v[80:81]
	v_add_f64 v[80:81], v[96:97], v[88:89]
	;; [unrolled: 1-line block ×4, first 2 shown]
	v_fma_f64 v[88:89], v[139:140], s[18:19], v[76:77]
	v_fma_f64 v[90:91], v[115:116], s[24:25], -v[113:114]
	v_mul_f64 v[143:144], v[143:144], s[20:21]
	v_mul_f64 v[175:176], v[141:142], s[38:39]
	v_add_f64 v[0:1], v[72:73], v[0:1]
	v_add_f64 v[72:73], v[84:85], v[80:81]
	v_fma_f64 v[167:168], v[121:122], s[18:19], v[167:168]
	v_add_f64 v[70:71], v[70:71], v[94:95]
	v_fma_f64 v[92:93], v[121:122], s[8:9], -v[98:99]
	v_add_f64 v[64:65], v[90:91], v[64:65]
	v_mul_f64 v[147:148], v[147:148], s[34:35]
	v_fma_f64 v[90:91], v[133:134], s[10:11], -v[143:144]
	v_add_f64 v[4:5], v[0:1], v[4:5]
	v_add_f64 v[0:1], v[88:89], v[72:73]
	;; [unrolled: 1-line block ×3, first 2 shown]
	v_lshlrev_b32_e32 v32, 4, v37
	buffer_load_dword v36, off, s[44:47], 0 ; 4-byte Folded Reload
	buffer_load_dword v37, off, s[44:47], 0 offset:4 ; 4-byte Folded Reload
	buffer_load_dword v38, off, s[44:47], 0 offset:8 ; 4-byte Folded Reload
	;; [unrolled: 1-line block ×3, first 2 shown]
	v_add_f64 v[70:71], v[70:71], v[82:83]
	v_mul_f64 v[187:188], v[145:146], s[40:41]
	v_fma_f64 v[190:191], v[131:132], s[8:9], -v[175:176]
	v_fma_f64 v[175:176], v[131:132], s[8:9], v[175:176]
	v_add_f64 v[34:35], v[167:168], v[34:35]
	v_add_f64 v[68:69], v[169:170], v[157:158]
	v_fma_f64 v[157:158], v[133:134], s[10:11], v[143:144]
	v_fma_f64 v[82:83], v[131:132], s[10:11], -v[86:87]
	v_add_f64 v[64:65], v[92:93], v[64:65]
	v_add_f64 v[70:71], v[70:71], v[2:3]
	v_fma_f64 v[86:87], v[137:138], s[18:19], -v[147:148]
	v_add_f64 v[66:67], v[90:91], v[66:67]
	v_fma_f64 v[78:79], v[139:140], s[28:29], v[187:188]
	v_add_f64 v[34:35], v[175:176], v[34:35]
	v_fma_f64 v[173:174], v[139:140], s[28:29], -v[187:188]
	v_add_f64 v[159:160], v[190:191], v[159:160]
	v_fma_f64 v[80:81], v[137:138], s[18:19], v[147:148]
	v_add_f64 v[74:75], v[157:158], v[74:75]
	v_fma_f64 v[84:85], v[139:140], s[18:19], -v[76:77]
	v_add_f64 v[64:65], v[82:83], v[64:65]
	v_add_f64 v[6:7], v[70:71], v[6:7]
	;; [unrolled: 1-line block ×4, first 2 shown]
	v_mov_b32_e32 v221, v206
	v_mov_b32_e32 v225, v43
	;; [unrolled: 1-line block ×8, first 2 shown]
	v_add_f64 v[70:71], v[173:174], v[159:160]
	v_add_f64 v[76:77], v[80:81], v[74:75]
	;; [unrolled: 1-line block ×3, first 2 shown]
	ds_write_b128 v32, v[4:7]
	ds_write_b128 v32, v[0:3] offset:16
	ds_write_b128 v32, v[66:69] offset:32
	;; [unrolled: 1-line block ×10, first 2 shown]
.LBB0_17:
	s_or_b64 exec, exec, s[22:23]
	s_waitcnt vmcnt(0) lgkmcnt(0)
	s_barrier
	ds_read_b128 v[0:3], v189 offset:1584
	ds_read_b128 v[4:7], v189 offset:3168
	;; [unrolled: 1-line block ×3, first 2 shown]
	ds_read_b128 v[68:71], v189
	ds_read_b128 v[72:75], v189 offset:6336
	ds_read_b128 v[76:79], v189 offset:7920
	ds_read_b128 v[80:83], v189 offset:9504
	s_mov_b32 s8, 0x37e14327
	s_waitcnt lgkmcnt(6)
	v_mul_f64 v[32:33], v[22:23], v[2:3]
	v_mul_f64 v[22:23], v[22:23], v[0:1]
	s_waitcnt lgkmcnt(5)
	v_mul_f64 v[34:35], v[18:19], v[6:7]
	v_mul_f64 v[18:19], v[18:19], v[4:5]
	s_mov_b32 s9, 0x3fe948f6
	s_mov_b32 s10, 0xe976ee23
	;; [unrolled: 1-line block ×4, first 2 shown]
	v_fma_f64 v[0:1], v[20:21], v[0:1], v[32:33]
	v_fma_f64 v[2:3], v[20:21], v[2:3], -v[22:23]
	v_fma_f64 v[4:5], v[16:17], v[4:5], v[34:35]
	v_fma_f64 v[6:7], v[16:17], v[6:7], -v[18:19]
	s_waitcnt lgkmcnt(0)
	v_mul_f64 v[16:17], v[26:27], v[82:83]
	v_mul_f64 v[18:19], v[26:27], v[80:81]
	;; [unrolled: 1-line block ×8, first 2 shown]
	v_fma_f64 v[16:17], v[24:25], v[80:81], v[16:17]
	v_fma_f64 v[18:19], v[24:25], v[82:83], -v[18:19]
	v_fma_f64 v[20:21], v[12:13], v[64:65], v[20:21]
	v_fma_f64 v[12:13], v[12:13], v[66:67], -v[14:15]
	;; [unrolled: 2-line block ×4, first 2 shown]
	v_add_f64 v[10:11], v[0:1], v[16:17]
	v_add_f64 v[26:27], v[2:3], v[18:19]
	v_add_f64 v[0:1], v[0:1], -v[16:17]
	v_add_f64 v[2:3], v[2:3], -v[18:19]
	v_add_f64 v[16:17], v[4:5], v[14:15]
	v_add_f64 v[18:19], v[6:7], v[22:23]
	v_add_f64 v[4:5], v[4:5], -v[14:15]
	v_add_f64 v[6:7], v[6:7], -v[22:23]
	;; [unrolled: 4-line block ×4, first 2 shown]
	v_add_f64 v[10:11], v[10:11], -v[14:15]
	v_add_f64 v[26:27], v[26:27], -v[22:23]
	v_add_f64 v[16:17], v[14:15], -v[16:17]
	v_add_f64 v[18:19], v[22:23], -v[18:19]
	v_add_f64 v[32:33], v[20:21], v[4:5]
	v_add_f64 v[34:35], v[8:9], v[6:7]
	v_add_f64 v[64:65], v[20:21], -v[4:5]
	v_add_f64 v[66:67], v[8:9], -v[6:7]
	v_add_f64 v[12:13], v[14:15], v[12:13]
	v_add_f64 v[14:15], v[22:23], v[24:25]
	v_add_f64 v[4:5], v[4:5], -v[0:1]
	v_add_f64 v[6:7], v[6:7], -v[2:3]
	v_mul_f64 v[10:11], v[10:11], s[8:9]
	v_mul_f64 v[26:27], v[26:27], s[8:9]
	s_mov_b32 s8, 0x36b3c0b5
	s_mov_b32 s9, 0x3fac98ee
	v_add_f64 v[22:23], v[32:33], v[0:1]
	v_add_f64 v[24:25], v[34:35], v[2:3]
	v_mul_f64 v[32:33], v[16:17], s[8:9]
	v_mul_f64 v[34:35], v[18:19], s[8:9]
	;; [unrolled: 1-line block ×4, first 2 shown]
	s_mov_b32 s10, 0x429ad128
	v_add_f64 v[20:21], v[0:1], -v[20:21]
	v_add_f64 v[8:9], v[2:3], -v[8:9]
	s_mov_b32 s11, 0xbfebfeb5
	v_add_f64 v[0:1], v[68:69], v[12:13]
	v_add_f64 v[2:3], v[70:71], v[14:15]
	v_mul_f64 v[68:69], v[4:5], s[10:11]
	v_mul_f64 v[70:71], v[6:7], s[10:11]
	v_fma_f64 v[16:17], v[16:17], s[8:9], v[10:11]
	v_fma_f64 v[18:19], v[18:19], s[8:9], v[26:27]
	s_mov_b32 s9, 0x3fe77f67
	s_mov_b32 s8, 0x5476071b
	v_fma_f64 v[32:33], v[28:29], s[8:9], -v[32:33]
	v_fma_f64 v[34:35], v[30:31], s[8:9], -v[34:35]
	s_mov_b32 s9, 0xbfe77f67
	v_fma_f64 v[10:11], v[28:29], s[8:9], -v[10:11]
	v_fma_f64 v[26:27], v[30:31], s[8:9], -v[26:27]
	s_mov_b32 s9, 0xbfd5d0dc
	s_mov_b32 s8, 0xb247c609
	;; [unrolled: 1-line block ×3, first 2 shown]
	v_fma_f64 v[28:29], v[20:21], s[8:9], v[64:65]
	v_fma_f64 v[30:31], v[8:9], s[8:9], v[66:67]
	s_mov_b32 s9, 0x3fd5d0dc
	v_fma_f64 v[12:13], v[12:13], s[16:17], v[0:1]
	v_fma_f64 v[14:15], v[14:15], s[16:17], v[2:3]
	v_fma_f64 v[4:5], v[4:5], s[10:11], -v[64:65]
	v_fma_f64 v[6:7], v[6:7], s[10:11], -v[66:67]
	;; [unrolled: 1-line block ×4, first 2 shown]
	s_mov_b32 s8, 0x37c3f68c
	s_mov_b32 s9, 0xbfdc38aa
	v_add_f64 v[64:65], v[16:17], v[12:13]
	v_add_f64 v[66:67], v[18:19], v[14:15]
	v_add_f64 v[16:17], v[32:33], v[12:13]
	v_add_f64 v[18:19], v[34:35], v[14:15]
	v_add_f64 v[32:33], v[10:11], v[12:13]
	v_add_f64 v[26:27], v[26:27], v[14:15]
	v_fma_f64 v[30:31], v[24:25], s[8:9], v[30:31]
	v_fma_f64 v[28:29], v[22:23], s[8:9], v[28:29]
	;; [unrolled: 1-line block ×6, first 2 shown]
	s_barrier
	v_add_f64 v[4:5], v[30:31], v[64:65]
	v_add_f64 v[6:7], v[66:67], -v[28:29]
	v_add_f64 v[12:13], v[34:35], v[32:33]
	v_add_f64 v[14:15], v[26:27], -v[20:21]
	v_add_f64 v[8:9], v[16:17], -v[24:25]
	v_add_f64 v[10:11], v[22:23], v[18:19]
	v_add_f64 v[16:17], v[24:25], v[16:17]
	v_add_f64 v[18:19], v[18:19], -v[22:23]
	v_add_f64 v[24:25], v[32:33], -v[34:35]
	v_add_f64 v[26:27], v[20:21], v[26:27]
	v_add_f64 v[20:21], v[64:65], -v[30:31]
	v_add_f64 v[22:23], v[28:29], v[66:67]
	ds_write_b128 v192, v[0:3]
	ds_write_b128 v192, v[4:7] offset:176
	ds_write_b128 v192, v[12:15] offset:352
	;; [unrolled: 1-line block ×6, first 2 shown]
	s_waitcnt lgkmcnt(0)
	s_barrier
	s_and_saveexec_b64 s[8:9], s[2:3]
	s_cbranch_execz .LBB0_19
; %bb.18:
	ds_read_b128 v[0:3], v189
	ds_read_b128 v[4:7], v189 offset:1232
	ds_read_b128 v[12:15], v189 offset:2464
	;; [unrolled: 1-line block ×8, first 2 shown]
.LBB0_19:
	s_or_b64 exec, exec, s[8:9]
	s_and_saveexec_b64 s[8:9], s[2:3]
	s_cbranch_execz .LBB0_21
; %bb.20:
	s_waitcnt lgkmcnt(6)
	v_mul_f64 v[64:65], v[46:47], v[14:15]
	s_waitcnt lgkmcnt(4)
	v_mul_f64 v[28:29], v[38:39], v[18:19]
	;; [unrolled: 2-line block ×4, first 2 shown]
	v_mul_f64 v[62:63], v[62:63], v[104:105]
	v_mul_f64 v[32:33], v[220:221], v[6:7]
	;; [unrolled: 1-line block ×4, first 2 shown]
	v_fma_f64 v[64:65], v[44:45], v[12:13], v[64:65]
	v_mul_f64 v[12:13], v[46:47], v[12:13]
	v_fma_f64 v[28:29], v[36:37], v[16:17], v[28:29]
	v_fma_f64 v[30:31], v[56:57], v[24:25], v[30:31]
	;; [unrolled: 1-line block ×3, first 2 shown]
	v_fma_f64 v[60:61], v[60:61], v[106:107], -v[62:63]
	v_mul_f64 v[16:17], v[38:39], v[16:17]
	v_fma_f64 v[32:33], v[218:219], v[4:5], v[32:33]
	v_fma_f64 v[46:47], v[222:223], v[8:9], v[68:69]
	v_fma_f64 v[12:13], v[44:45], v[14:15], -v[12:13]
	v_mul_f64 v[14:15], v[58:59], v[24:25]
	v_add_f64 v[72:73], v[28:29], -v[30:31]
	v_fma_f64 v[68:69], v[48:49], v[20:21], v[70:71]
	v_mul_f64 v[4:5], v[220:221], v[4:5]
	v_fma_f64 v[16:17], v[36:37], v[18:19], -v[16:17]
	v_mul_f64 v[18:19], v[50:51], v[20:21]
	s_waitcnt lgkmcnt(0)
	v_mul_f64 v[20:21], v[54:55], v[100:101]
	v_add_f64 v[58:59], v[12:13], v[60:61]
	v_fma_f64 v[14:15], v[56:57], v[26:27], -v[14:15]
	s_mov_b32 s2, 0x8c811c17
	s_mov_b32 s18, 0xa2cf5039
	;; [unrolled: 1-line block ×4, first 2 shown]
	v_mul_f64 v[34:35], v[54:55], v[102:103]
	v_add_f64 v[70:71], v[64:65], -v[66:67]
	v_mul_f64 v[74:75], v[72:73], s[2:3]
	v_mul_f64 v[8:9], v[224:225], v[8:9]
	v_fma_f64 v[26:27], v[58:59], s[18:19], v[2:3]
	v_add_f64 v[38:39], v[16:17], v[14:15]
	v_fma_f64 v[20:21], v[52:53], v[102:103], -v[20:21]
	v_fma_f64 v[4:5], v[218:219], v[6:7], -v[4:5]
	s_mov_b32 s22, 0x7e0b738b
	s_mov_b32 s11, 0xbfe491b7
	;; [unrolled: 1-line block ×4, first 2 shown]
	v_fma_f64 v[34:35], v[52:53], v[100:101], v[34:35]
	v_add_f64 v[42:43], v[46:47], -v[68:69]
	v_fma_f64 v[44:45], v[70:71], s[10:11], -v[74:75]
	v_fma_f64 v[18:19], v[48:49], v[22:23], -v[18:19]
	;; [unrolled: 1-line block ×3, first 2 shown]
	v_add_f64 v[22:23], v[16:17], -v[14:15]
	v_add_f64 v[36:37], v[64:65], v[66:67]
	v_fma_f64 v[10:11], v[38:39], s[22:23], v[26:27]
	v_add_f64 v[26:27], v[4:5], v[20:21]
	s_mov_b32 s16, 0xe8584cab
	s_mov_b32 s17, 0x3febb67a
	v_add_f64 v[24:25], v[32:33], -v[34:35]
	v_fma_f64 v[8:9], v[42:43], s[16:17], v[44:45]
	v_add_f64 v[40:41], v[6:7], v[18:19]
	v_add_f64 v[12:13], v[12:13], -v[60:61]
	v_mul_f64 v[44:45], v[22:23], s[2:3]
	v_fma_f64 v[48:49], v[36:37], s[18:19], v[0:1]
	v_add_f64 v[50:51], v[28:29], v[30:31]
	v_add_f64 v[52:53], v[58:59], v[26:27]
	;; [unrolled: 1-line block ×3, first 2 shown]
	v_add_f64 v[18:19], v[6:7], -v[18:19]
	v_fma_f64 v[10:11], v[40:41], -0.5, v[10:11]
	s_mov_b32 s20, 0x748a0bf8
	v_fma_f64 v[6:7], v[12:13], s[10:11], -v[44:45]
	v_add_f64 v[44:45], v[46:47], v[68:69]
	v_fma_f64 v[34:35], v[50:51], s[22:23], v[48:49]
	v_add_f64 v[46:47], v[40:41], v[52:53]
	v_add_f64 v[48:49], v[36:37], v[32:33]
	s_mov_b32 s24, 0x42522d1b
	s_mov_b32 s21, 0x3fd5e3a8
	;; [unrolled: 1-line block ×3, first 2 shown]
	v_fma_f64 v[8:9], v[24:25], s[20:21], v[8:9]
	v_fma_f64 v[10:11], v[26:27], s[24:25], v[10:11]
	v_add_f64 v[20:21], v[4:5], -v[20:21]
	v_fma_f64 v[4:5], v[18:19], s[16:17], v[6:7]
	v_fma_f64 v[34:35], v[44:45], -0.5, v[34:35]
	v_add_f64 v[16:17], v[16:17], v[46:47]
	v_add_f64 v[46:47], v[44:45], v[48:49]
	;; [unrolled: 1-line block ×3, first 2 shown]
	v_fma_f64 v[62:63], v[32:33], s[18:19], v[0:1]
	v_add_f64 v[6:7], v[8:9], v[10:11]
	v_add_f64 v[56:57], v[22:23], v[20:21]
	v_fma_f64 v[54:55], v[20:21], s[20:21], v[4:5]
	v_fma_f64 v[4:5], v[32:33], s[24:25], v[34:35]
	v_add_f64 v[14:15], v[14:15], v[16:17]
	v_add_f64 v[16:17], v[28:29], v[46:47]
	;; [unrolled: 1-line block ×6, first 2 shown]
	v_fma_f64 v[10:11], v[8:9], -2.0, v[6:7]
	s_mov_b32 s27, 0xbfebb67a
	v_add_f64 v[14:15], v[2:3], v[14:15]
	v_add_f64 v[8:9], v[30:31], v[16:17]
	v_add_f64 v[16:17], v[28:29], -v[70:71]
	s_mov_b32 s26, s16
	v_fma_f64 v[28:29], v[46:47], -0.5, v[34:35]
	v_fma_f64 v[30:31], v[48:49], -0.5, v[52:53]
	v_add_f64 v[34:35], v[56:57], -v[12:13]
	v_mul_f64 v[46:47], v[72:73], s[10:11]
	v_fma_f64 v[48:49], v[38:39], s[18:19], v[2:3]
	v_fma_f64 v[52:53], v[50:51], s[18:19], v[0:1]
	v_mul_f64 v[56:57], v[22:23], s[10:11]
	s_mov_b32 s11, 0x3fe491b7
	v_mul_f64 v[60:61], v[24:25], s[10:11]
	v_fma_f64 v[2:3], v[26:27], s[18:19], v[2:3]
	v_mul_f64 v[64:65], v[20:21], s[10:11]
	v_fma_f64 v[24:25], v[24:25], s[2:3], v[46:47]
	v_fma_f64 v[26:27], v[26:27], s[22:23], v[48:49]
	;; [unrolled: 1-line block ×9, first 2 shown]
	v_fma_f64 v[26:27], v[40:41], -0.5, v[26:27]
	v_fma_f64 v[32:33], v[44:45], -0.5, v[32:33]
	v_fma_f64 v[20:21], v[18:19], s[26:27], v[20:21]
	v_add_f64 v[4:5], v[4:5], -v[54:55]
	v_fma_f64 v[42:43], v[42:43], s[16:17], v[46:47]
	v_fma_f64 v[2:3], v[40:41], -0.5, v[2:3]
	v_fma_f64 v[40:41], v[44:45], -0.5, v[48:49]
	v_fma_f64 v[18:19], v[18:19], s[16:17], v[52:53]
	v_fma_f64 v[44:45], v[70:71], s[20:21], v[24:25]
	;; [unrolled: 1-line block ×9, first 2 shown]
	v_mul_f64 v[40:41], v[16:17], s[16:17]
	v_fma_f64 v[18:19], v[16:17], s[16:17], v[28:29]
	v_mul_f64 v[28:29], v[34:35], s[16:17]
	v_fma_f64 v[16:17], v[34:35], s[26:27], v[30:31]
	v_add_f64 v[22:23], v[44:45], v[24:25]
	v_add_f64 v[20:21], v[26:27], -v[32:33]
	v_add_f64 v[26:27], v[36:37], v[2:3]
	v_add_f64 v[24:25], v[12:13], -v[38:39]
	v_add_f64 v[12:13], v[0:1], v[8:9]
	v_fma_f64 v[8:9], v[54:55], 2.0, v[4:5]
	v_fma_f64 v[2:3], v[40:41], -2.0, v[18:19]
	v_fma_f64 v[0:1], v[28:29], 2.0, v[16:17]
	v_fma_f64 v[30:31], v[44:45], -2.0, v[22:23]
	;; [unrolled: 2-line block ×3, first 2 shown]
	v_fma_f64 v[32:33], v[38:39], 2.0, v[24:25]
	ds_write_b128 v189, v[12:15]
	ds_write_b128 v189, v[24:27] offset:1232
	ds_write_b128 v189, v[20:23] offset:2464
	;; [unrolled: 1-line block ×8, first 2 shown]
.LBB0_21:
	s_or_b64 exec, exec, s[8:9]
	s_waitcnt lgkmcnt(0)
	s_barrier
	s_and_b64 exec, exec, s[0:1]
	s_cbranch_execz .LBB0_23
; %bb.22:
	global_load_dwordx4 v[0:3], v189, s[14:15]
	global_load_dwordx4 v[4:7], v189, s[14:15] offset:1008
	global_load_dwordx4 v[8:11], v189, s[14:15] offset:2016
	;; [unrolled: 1-line block ×4, first 2 shown]
	v_mad_u64_u32 v[72:73], s[0:1], s6, v217, 0
	v_mov_b32_e32 v20, s15
	v_add_co_u32_e32 v56, vcc, s14, v189
	s_movk_i32 s0, 0x1000
	v_addc_co_u32_e32 v57, vcc, 0, v20, vcc
	v_add_co_u32_e32 v64, vcc, s0, v56
	v_addc_co_u32_e32 v65, vcc, 0, v57, vcc
	global_load_dwordx4 v[20:23], v[64:65], off offset:944
	ds_read_b128 v[24:27], v189
	ds_read_b128 v[28:31], v189 offset:1008
	ds_read_b128 v[32:35], v189 offset:2016
	;; [unrolled: 1-line block ×5, first 2 shown]
	global_load_dwordx4 v[52:55], v[64:65], off offset:1952
	v_mad_u64_u32 v[74:75], s[2:3], s4, v108, 0
	s_mul_hi_u32 s6, s4, 0x3f0
	s_mul_i32 s2, s4, 0x3f0
	s_movk_i32 s4, 0x2000
	v_add_co_u32_e32 v76, vcc, s4, v56
	ds_read_b128 v[48:51], v189 offset:10080
	v_addc_co_u32_e32 v77, vcc, 0, v57, vcc
	global_load_dwordx4 v[56:59], v[64:65], off offset:2960
	global_load_dwordx4 v[60:63], v[64:65], off offset:3968
	s_mul_i32 s3, s5, 0x3f0
	v_mov_b32_e32 v64, v73
	v_mov_b32_e32 v65, v75
	s_add_i32 s3, s6, s3
	v_mad_u64_u32 v[78:79], s[6:7], s7, v217, v[64:65]
	v_mad_u64_u32 v[79:80], s[4:5], s5, v108, v[65:66]
	global_load_dwordx4 v[64:67], v[76:77], off offset:880
	global_load_dwordx4 v[68:71], v[76:77], off offset:1888
	v_mov_b32_e32 v73, v78
	v_lshlrev_b64 v[72:73], 4, v[72:73]
	v_mov_b32_e32 v75, v79
	v_mov_b32_e32 v81, s13
	v_lshlrev_b64 v[74:75], 4, v[74:75]
	v_add_co_u32_e32 v72, vcc, s12, v72
	v_addc_co_u32_e32 v73, vcc, v81, v73, vcc
	v_add_co_u32_e32 v72, vcc, v72, v74
	v_addc_co_u32_e32 v73, vcc, v73, v75, vcc
	v_mov_b32_e32 v82, s3
	v_add_co_u32_e32 v74, vcc, s2, v72
	v_addc_co_u32_e32 v75, vcc, v73, v82, vcc
	v_mov_b32_e32 v83, s3
	v_add_co_u32_e32 v76, vcc, s2, v74
	v_addc_co_u32_e32 v77, vcc, v75, v83, vcc
	s_mov_b32 s0, 0x5e918c
	s_mov_b32 s1, 0x3f57a463
	v_mov_b32_e32 v88, s3
	s_waitcnt vmcnt(10) lgkmcnt(6)
	v_mul_f64 v[78:79], v[26:27], v[2:3]
	v_mul_f64 v[2:3], v[24:25], v[2:3]
	s_waitcnt vmcnt(9) lgkmcnt(5)
	v_mul_f64 v[80:81], v[30:31], v[6:7]
	v_mul_f64 v[6:7], v[28:29], v[6:7]
	;; [unrolled: 3-line block ×4, first 2 shown]
	v_fma_f64 v[24:25], v[24:25], v[0:1], v[78:79]
	v_fma_f64 v[2:3], v[0:1], v[26:27], -v[2:3]
	v_fma_f64 v[26:27], v[28:29], v[4:5], v[80:81]
	v_fma_f64 v[6:7], v[4:5], v[30:31], -v[6:7]
	v_fma_f64 v[28:29], v[32:33], v[8:9], v[82:83]
	v_fma_f64 v[10:11], v[8:9], v[34:35], -v[10:11]
	s_waitcnt vmcnt(6) lgkmcnt(2)
	v_mul_f64 v[86:87], v[42:43], v[18:19]
	v_mul_f64 v[18:19], v[40:41], v[18:19]
	v_fma_f64 v[30:31], v[36:37], v[12:13], v[84:85]
	v_fma_f64 v[14:15], v[12:13], v[38:39], -v[14:15]
	v_mul_f64 v[0:1], v[24:25], s[0:1]
	v_mul_f64 v[2:3], v[2:3], s[0:1]
	;; [unrolled: 1-line block ×6, first 2 shown]
	s_waitcnt vmcnt(5) lgkmcnt(1)
	v_mul_f64 v[24:25], v[46:47], v[22:23]
	v_fma_f64 v[26:27], v[40:41], v[16:17], v[86:87]
	v_fma_f64 v[16:17], v[16:17], v[42:43], -v[18:19]
	v_mul_f64 v[12:13], v[30:31], s[0:1]
	v_mul_f64 v[14:15], v[14:15], s[0:1]
	global_store_dwordx4 v[72:73], v[0:3], off
	global_store_dwordx4 v[74:75], v[4:7], off
	;; [unrolled: 1-line block ×3, first 2 shown]
	ds_read_b128 v[4:7], v189 offset:6048
	v_mul_f64 v[8:9], v[44:45], v[22:23]
	v_add_co_u32_e32 v18, vcc, s2, v76
	v_addc_co_u32_e32 v19, vcc, v77, v88, vcc
	global_store_dwordx4 v[18:19], v[12:15], off
	v_mul_f64 v[0:1], v[26:27], s[0:1]
	v_mul_f64 v[2:3], v[16:17], s[0:1]
	v_fma_f64 v[12:13], v[44:45], v[20:21], v[24:25]
	v_fma_f64 v[14:15], v[20:21], v[46:47], -v[8:9]
	ds_read_b128 v[8:11], v189 offset:7056
	s_waitcnt vmcnt(8) lgkmcnt(1)
	v_mul_f64 v[16:17], v[6:7], v[54:55]
	v_mul_f64 v[20:21], v[4:5], v[54:55]
	v_mov_b32_e32 v22, s3
	v_add_co_u32_e32 v18, vcc, s2, v18
	v_addc_co_u32_e32 v19, vcc, v19, v22, vcc
	global_store_dwordx4 v[18:19], v[0:3], off
	v_fma_f64 v[4:5], v[4:5], v[52:53], v[16:17]
	v_mul_f64 v[0:1], v[12:13], s[0:1]
	v_mul_f64 v[2:3], v[14:15], s[0:1]
	v_fma_f64 v[6:7], v[52:53], v[6:7], -v[20:21]
	s_waitcnt vmcnt(8) lgkmcnt(0)
	v_mul_f64 v[12:13], v[10:11], v[58:59]
	v_mul_f64 v[14:15], v[8:9], v[58:59]
	v_add_co_u32_e32 v16, vcc, s2, v18
	v_addc_co_u32_e32 v17, vcc, v19, v22, vcc
	global_store_dwordx4 v[16:17], v[0:3], off
	v_add_co_u32_e32 v16, vcc, s2, v16
	v_mul_f64 v[0:1], v[4:5], s[0:1]
	v_mul_f64 v[2:3], v[6:7], s[0:1]
	ds_read_b128 v[4:7], v189 offset:8064
	v_fma_f64 v[12:13], v[8:9], v[56:57], v[12:13]
	v_fma_f64 v[14:15], v[56:57], v[10:11], -v[14:15]
	ds_read_b128 v[8:11], v189 offset:9072
	v_addc_co_u32_e32 v17, vcc, v17, v22, vcc
	s_waitcnt vmcnt(8) lgkmcnt(1)
	v_mul_f64 v[18:19], v[6:7], v[62:63]
	v_mul_f64 v[20:21], v[4:5], v[62:63]
	global_store_dwordx4 v[16:17], v[0:3], off
	v_fma_f64 v[4:5], v[4:5], v[60:61], v[18:19]
	v_mul_f64 v[0:1], v[12:13], s[0:1]
	v_mov_b32_e32 v13, s3
	v_add_co_u32_e32 v12, vcc, s2, v16
	v_mul_f64 v[2:3], v[14:15], s[0:1]
	v_fma_f64 v[6:7], v[60:61], v[6:7], -v[20:21]
	v_addc_co_u32_e32 v13, vcc, v17, v13, vcc
	s_waitcnt vmcnt(8) lgkmcnt(0)
	v_mul_f64 v[14:15], v[10:11], v[66:67]
	v_mul_f64 v[16:17], v[8:9], v[66:67]
	s_waitcnt vmcnt(7)
	v_mul_f64 v[18:19], v[50:51], v[70:71]
	v_mul_f64 v[20:21], v[48:49], v[70:71]
	global_store_dwordx4 v[12:13], v[0:3], off
	v_add_co_u32_e32 v12, vcc, s2, v12
	v_mul_f64 v[0:1], v[4:5], s[0:1]
	v_mul_f64 v[2:3], v[6:7], s[0:1]
	v_fma_f64 v[4:5], v[8:9], v[64:65], v[14:15]
	v_fma_f64 v[6:7], v[64:65], v[10:11], -v[16:17]
	v_fma_f64 v[8:9], v[48:49], v[68:69], v[18:19]
	v_fma_f64 v[10:11], v[68:69], v[50:51], -v[20:21]
	v_addc_co_u32_e32 v13, vcc, v13, v22, vcc
	v_mov_b32_e32 v14, s3
	global_store_dwordx4 v[12:13], v[0:3], off
	s_nop 0
	v_mul_f64 v[0:1], v[4:5], s[0:1]
	v_mul_f64 v[2:3], v[6:7], s[0:1]
	;; [unrolled: 1-line block ×4, first 2 shown]
	v_add_co_u32_e32 v8, vcc, s2, v12
	v_addc_co_u32_e32 v9, vcc, v13, v14, vcc
	global_store_dwordx4 v[8:9], v[0:3], off
	s_nop 0
	v_mov_b32_e32 v1, s3
	v_add_co_u32_e32 v0, vcc, s2, v8
	v_addc_co_u32_e32 v1, vcc, v9, v1, vcc
	global_store_dwordx4 v[0:1], v[4:7], off
.LBB0_23:
	s_endpgm
	.section	.rodata,"a",@progbits
	.p2align	6, 0x0
	.amdhsa_kernel bluestein_single_back_len693_dim1_dp_op_CI_CI
		.amdhsa_group_segment_fixed_size 11088
		.amdhsa_private_segment_fixed_size 28
		.amdhsa_kernarg_size 104
		.amdhsa_user_sgpr_count 6
		.amdhsa_user_sgpr_private_segment_buffer 1
		.amdhsa_user_sgpr_dispatch_ptr 0
		.amdhsa_user_sgpr_queue_ptr 0
		.amdhsa_user_sgpr_kernarg_segment_ptr 1
		.amdhsa_user_sgpr_dispatch_id 0
		.amdhsa_user_sgpr_flat_scratch_init 0
		.amdhsa_user_sgpr_private_segment_size 0
		.amdhsa_uses_dynamic_stack 0
		.amdhsa_system_sgpr_private_segment_wavefront_offset 1
		.amdhsa_system_sgpr_workgroup_id_x 1
		.amdhsa_system_sgpr_workgroup_id_y 0
		.amdhsa_system_sgpr_workgroup_id_z 0
		.amdhsa_system_sgpr_workgroup_info 0
		.amdhsa_system_vgpr_workitem_id 0
		.amdhsa_next_free_vgpr 256
		.amdhsa_next_free_sgpr 48
		.amdhsa_reserve_vcc 1
		.amdhsa_reserve_flat_scratch 0
		.amdhsa_float_round_mode_32 0
		.amdhsa_float_round_mode_16_64 0
		.amdhsa_float_denorm_mode_32 3
		.amdhsa_float_denorm_mode_16_64 3
		.amdhsa_dx10_clamp 1
		.amdhsa_ieee_mode 1
		.amdhsa_fp16_overflow 0
		.amdhsa_exception_fp_ieee_invalid_op 0
		.amdhsa_exception_fp_denorm_src 0
		.amdhsa_exception_fp_ieee_div_zero 0
		.amdhsa_exception_fp_ieee_overflow 0
		.amdhsa_exception_fp_ieee_underflow 0
		.amdhsa_exception_fp_ieee_inexact 0
		.amdhsa_exception_int_div_zero 0
	.end_amdhsa_kernel
	.text
.Lfunc_end0:
	.size	bluestein_single_back_len693_dim1_dp_op_CI_CI, .Lfunc_end0-bluestein_single_back_len693_dim1_dp_op_CI_CI
                                        ; -- End function
	.section	.AMDGPU.csdata,"",@progbits
; Kernel info:
; codeLenInByte = 14436
; NumSgprs: 52
; NumVgprs: 256
; ScratchSize: 28
; MemoryBound: 0
; FloatMode: 240
; IeeeMode: 1
; LDSByteSize: 11088 bytes/workgroup (compile time only)
; SGPRBlocks: 6
; VGPRBlocks: 63
; NumSGPRsForWavesPerEU: 52
; NumVGPRsForWavesPerEU: 256
; Occupancy: 1
; WaveLimiterHint : 1
; COMPUTE_PGM_RSRC2:SCRATCH_EN: 1
; COMPUTE_PGM_RSRC2:USER_SGPR: 6
; COMPUTE_PGM_RSRC2:TRAP_HANDLER: 0
; COMPUTE_PGM_RSRC2:TGID_X_EN: 1
; COMPUTE_PGM_RSRC2:TGID_Y_EN: 0
; COMPUTE_PGM_RSRC2:TGID_Z_EN: 0
; COMPUTE_PGM_RSRC2:TIDIG_COMP_CNT: 0
	.type	__hip_cuid_e154835b084d5baa,@object ; @__hip_cuid_e154835b084d5baa
	.section	.bss,"aw",@nobits
	.globl	__hip_cuid_e154835b084d5baa
__hip_cuid_e154835b084d5baa:
	.byte	0                               ; 0x0
	.size	__hip_cuid_e154835b084d5baa, 1

	.ident	"AMD clang version 19.0.0git (https://github.com/RadeonOpenCompute/llvm-project roc-6.4.0 25133 c7fe45cf4b819c5991fe208aaa96edf142730f1d)"
	.section	".note.GNU-stack","",@progbits
	.addrsig
	.addrsig_sym __hip_cuid_e154835b084d5baa
	.amdgpu_metadata
---
amdhsa.kernels:
  - .args:
      - .actual_access:  read_only
        .address_space:  global
        .offset:         0
        .size:           8
        .value_kind:     global_buffer
      - .actual_access:  read_only
        .address_space:  global
        .offset:         8
        .size:           8
        .value_kind:     global_buffer
      - .actual_access:  read_only
        .address_space:  global
        .offset:         16
        .size:           8
        .value_kind:     global_buffer
      - .actual_access:  read_only
        .address_space:  global
        .offset:         24
        .size:           8
        .value_kind:     global_buffer
      - .actual_access:  read_only
        .address_space:  global
        .offset:         32
        .size:           8
        .value_kind:     global_buffer
      - .offset:         40
        .size:           8
        .value_kind:     by_value
      - .address_space:  global
        .offset:         48
        .size:           8
        .value_kind:     global_buffer
      - .address_space:  global
        .offset:         56
        .size:           8
        .value_kind:     global_buffer
      - .address_space:  global
        .offset:         64
        .size:           8
        .value_kind:     global_buffer
      - .address_space:  global
        .offset:         72
        .size:           8
        .value_kind:     global_buffer
      - .offset:         80
        .size:           4
        .value_kind:     by_value
      - .address_space:  global
        .offset:         88
        .size:           8
        .value_kind:     global_buffer
      - .address_space:  global
        .offset:         96
        .size:           8
        .value_kind:     global_buffer
    .group_segment_fixed_size: 11088
    .kernarg_segment_align: 8
    .kernarg_segment_size: 104
    .language:       OpenCL C
    .language_version:
      - 2
      - 0
    .max_flat_workgroup_size: 99
    .name:           bluestein_single_back_len693_dim1_dp_op_CI_CI
    .private_segment_fixed_size: 28
    .sgpr_count:     52
    .sgpr_spill_count: 0
    .symbol:         bluestein_single_back_len693_dim1_dp_op_CI_CI.kd
    .uniform_work_group_size: 1
    .uses_dynamic_stack: false
    .vgpr_count:     256
    .vgpr_spill_count: 6
    .wavefront_size: 64
amdhsa.target:   amdgcn-amd-amdhsa--gfx906
amdhsa.version:
  - 1
  - 2
...

	.end_amdgpu_metadata
